;; amdgpu-corpus repo=ROCm/aiter kind=harvested arch=n/a opt=n/a

/root/src/amdgpu-assembly/repos/ROCm__aiter/hsa/gfx942/fmoe_2stages/fmoe_stage1_bf16_pertokenInt8_g1u1_64x256_pf3.co:	file format elf64-amdgpu

Disassembly of section .text:

0000000000002a00 <_ZN5aiter45fmoe_stage1_bf16_pertokenInt8_g1u1_64x256_pf3E>:
	s_and_b32 s1, s1, 0xffff                                   // 000000002A00: 8601FF01 0000FFFF
	s_load_dwordx2 s[8:9], s[0:1], 0x0                         // 000000002A08: C0060200 00000000
	s_load_dwordx2 s[20:21], s[0:1], 0x10                      // 000000002A10: C0060500 00000010
	s_load_dwordx2 s[24:25], s[0:1], 0x20                      // 000000002A18: C0060600 00000020
	s_load_dwordx2 s[48:49], s[0:1], 0x30                      // 000000002A20: C0060C00 00000030
	s_load_dwordx2 s[28:29], s[0:1], 0x40                      // 000000002A28: C0060700 00000040
	s_load_dwordx2 s[32:33], s[0:1], 0x50                      // 000000002A30: C0060800 00000050
	s_load_dwordx2 s[36:37], s[0:1], 0x60                      // 000000002A38: C0060900 00000060
	s_load_dwordx2 s[12:13], s[0:1], 0x70                      // 000000002A40: C0060300 00000070
	s_load_dwordx2 s[44:45], s[0:1], 0x80                      // 000000002A48: C0060B00 00000080
	s_mov_b32 s89, 0                                           // 000000002A50: BED90080
	s_load_dword s64, s[0:1], 0x90                             // 000000002A54: C0021000 00000090
	s_load_dword s65, s[0:1], 0xa0                             // 000000002A5C: C0021040 000000A0
	s_load_dword s66, s[0:1], 0xb0                             // 000000002A64: C0021080 000000B0
	s_load_dword s67, s[0:1], 0xc0                             // 000000002A6C: C00210C0 000000C0
	s_load_dword s68, s[0:1], 0xd0                             // 000000002A74: C0021100 000000D0
	s_load_dword s69, s[0:1], 0xe0                             // 000000002A7C: C0021140 000000E0
	s_load_dword s71, s[0:1], 0xf0                             // 000000002A84: C00211C0 000000F0
	s_load_dword s72, s[0:1], 0x100                            // 000000002A8C: C0021200 00000100
	s_load_dword s74, s[0:1], 0x110                            // 000000002A94: C0021280 00000110
	s_load_dword s76, s[0:1], 0x120                            // 000000002A9C: C0021300 00000120
	s_load_dword s56, s[0:1], 0x130                            // 000000002AA4: C0020E00 00000130
	s_load_dword s88, s[0:1], 0x140                            // 000000002AAC: C0021600 00000140
	s_load_dword s89, s[0:1], 0x150                            // 000000002AB4: C0021640 00000150
	v_lshrrev_b32_e32 v1, 10, v0                               // 000000002ABC: 2002008A
	v_lshrrev_b32_e32 v2, 10, v1                               // 000000002AC0: 2004028A
	v_and_b32_e32 v2, 0x3ff, v2                                // 000000002AC4: 260404FF 000003FF
	v_and_b32_e32 v1, 0x3ff, v1                                // 000000002ACC: 260202FF 000003FF
	v_and_b32_e32 v0, 0x3ff, v0                                // 000000002AD4: 260000FF 000003FF
	v_lshrrev_b32_e32 v3, 6, v0                                // 000000002ADC: 20060086
	v_and_b32_e32 v0, 63, v0                                   // 000000002AE0: 260000BF
	s_mov_b32 s2, s2                                           // 000000002AE4: BE820002
	s_mov_b32 s3, s3                                           // 000000002AE8: BE830003
	s_mov_b32 s4, s4                                           // 000000002AEC: BE840004
	v_readfirstlane_b32 s7, v3                                 // 000000002AF0: 7E0E0503
	s_waitcnt lgkmcnt(0)                                       // 000000002AF4: BF8CC07F
	s_and_b32 s49, s49, 0xffff                                 // 000000002AF8: 8631FF31 0000FFFF
	s_load_dword s48, s[48:49], 0x0                            // 000000002B00: C0020C18 00000000
	s_and_b32 s45, s45, 0xffff                                 // 000000002B08: 862DFF2D 0000FFFF
	s_and_b32 s9, s9, 0xffff                                   // 000000002B10: 8609FF09 0000FFFF
	s_mul_i32 s60, s66, s68                                    // 000000002B18: 923C4442
	s_mul_i32 s61, s66, 4                                      // 000000002B1C: 923D8442
	s_mov_b32 s22, s60                                         // 000000002B20: BE96003C
	s_mov_b32 s26, -16                                         // 000000002B24: BE9A00D0
	s_mov_b32 s30, s61                                         // 000000002B28: BE9E003D
	s_mov_b32 s14, 0x100                                       // 000000002B2C: BE8E00FF 00000100
	s_mov_b32 s38, -16                                         // 000000002B34: BEA600D0
	s_mov_b32 s10, -16                                         // 000000002B38: BE8A00D0
	s_mov_b32 s34, 0x400                                       // 000000002B3C: BEA200FF 00000400
	s_mov_b32 s23, 0x20000                                     // 000000002B44: BE9700FF 00020000
	s_mov_b32 s27, 0x20000                                     // 000000002B4C: BE9B00FF 00020000
	s_mov_b32 s31, 0x20000                                     // 000000002B54: BE9F00FF 00020000
	s_mov_b32 s35, 0x20000                                     // 000000002B5C: BEA300FF 00020000
	s_mov_b32 s15, 0x20000                                     // 000000002B64: BE8F00FF 00020000
	s_mov_b32 s39, 0x20000                                     // 000000002B6C: BEA700FF 00020000
	s_mov_b32 s11, 0x20000                                     // 000000002B74: BE8B00FF 00020000
	s_and_b32 s21, s21, 0xffff                                 // 000000002B7C: 8615FF15 0000FFFF
	s_and_b32 s25, s25, 0xffff                                 // 000000002B84: 8619FF19 0000FFFF
	s_and_b32 s29, s29, 0xffff                                 // 000000002B8C: 861DFF1D 0000FFFF
	s_and_b32 s33, s33, 0xffff                                 // 000000002B94: 8621FF21 0000FFFF
	s_and_b32 s13, s13, 0xffff                                 // 000000002B9C: 860DFF0D 0000FFFF
	s_and_b32 s37, s37, 0xffff                                 // 000000002BA4: 8625FF25 0000FFFF
	s_or_b32 s21, s21, 0x40000                                 // 000000002BAC: 8715FF15 00040000
	s_or_b32 s25, s25, 0x40000                                 // 000000002BB4: 8719FF19 00040000
	s_or_b32 s29, s29, 0x40000                                 // 000000002BBC: 871DFF1D 00040000
	s_or_b32 s33, s33, 0x40000                                 // 000000002BC4: 8721FF21 00040000
	s_or_b32 s13, s13, 0x40000                                 // 000000002BCC: 870DFF0D 00040000
	s_or_b32 s37, s37, 0x40000                                 // 000000002BD4: 8725FF25 00040000
	v_accvgpr_write_b32 a159, 0                                // 000000002BDC: D3D9409F 18000080
	v_mov_b32_e32 v187, 0                                      // 000000002BE4: 7F760280
	s_waitcnt lgkmcnt(0)                                       // 000000002BE8: BF8CC07F
	s_mul_i32 s60, s3, 64                                      // 000000002BEC: 923CC003
	s_cmp_lt_i32 s60, s48                                      // 000000002BF0: BF04303C
	s_cbranch_scc0 label_32BE                                  // 000000002BF4: BF84323D
	s_mov_b32 s80, 0                                           // 000000002BF8: BED00080
	s_lshr_b32 s81, s64, s88                                   // 000000002BFC: 8F515840
	s_mul_i32 s60, s3, 4                                       // 000000002C00: 923C8403
	s_add_u32 s44, s60, s44                                    // 000000002C04: 802C2C3C
	s_addc_u32 s45, 0, s45                                     // 000000002C08: 822D2D80
	s_load_dword s5, s[44:45], 0x0                             // 000000002C0C: C0020156 00000000
	s_mul_i32 s60, s3, 64                                      // 000000002C14: 923CC003
	s_mul_i32 s60, 4, s60                                      // 000000002C18: 923C3C84
	s_add_u32 s12, s60, s12                                    // 000000002C1C: 800C0C3C
	s_addc_u32 s13, 0, s13                                     // 000000002C20: 820D0D80
	v_and_b32_e32 v4, 15, v0                                   // 000000002C24: 2608008F
	v_lshlrev_b32_e32 v4, 2, v4                                // 000000002C28: 24080882
	buffer_load_dword v30, v4, s[12:15], 0 offen               // 000000002C2C: E0501000 80031E04
	v_add_u32_e32 v4, 64, v4                                   // 000000002C34: 680808C0
	buffer_load_dword v31, v4, s[12:15], 0 offen               // 000000002C38: E0501000 80031F04
	v_add_u32_e32 v4, 64, v4                                   // 000000002C40: 680808C0
	buffer_load_dword v32, v4, s[12:15], 0 offen               // 000000002C44: E0501000 80032004
	v_add_u32_e32 v4, 64, v4                                   // 000000002C4C: 680808C0
	buffer_load_dword v33, v4, s[12:15], 0 offen               // 000000002C50: E0501000 80032104
	v_add_u32_e32 v4, 64, v4                                   // 000000002C58: 680808C0
	s_mul_i32 s60, 4, s7                                       // 000000002C5C: 923C0784
	v_lshlrev_b32_e32 v4, 4, v0                                // 000000002C60: 24080084
	v_add_u32_e32 v4, s60, v4                                  // 000000002C64: 6808083C
	buffer_load_dword v3, v4, s[12:15], 0 offen                // 000000002C68: E0501000 80030304
	v_mov_b32_e32 v60, 0                                       // 000000002C70: 7E780280
	v_mov_b32_e32 v124, 0                                      // 000000002C74: 7EF80280
	v_mov_b32_e32 v61, 0                                       // 000000002C78: 7E7A0280
	v_mov_b32_e32 v125, 0                                      // 000000002C7C: 7EFA0280
	v_mov_b32_e32 v62, 0                                       // 000000002C80: 7E7C0280
	v_mov_b32_e32 v126, 0                                      // 000000002C84: 7EFC0280
	v_mov_b32_e32 v63, 0                                       // 000000002C88: 7E7E0280
	v_mov_b32_e32 v127, 0                                      // 000000002C8C: 7EFE0280
	v_mov_b32_e32 v64, 0                                       // 000000002C90: 7E800280
	v_mov_b32_e32 v128, 0                                      // 000000002C94: 7F000280
	v_mov_b32_e32 v65, 0                                       // 000000002C98: 7E820280
	v_mov_b32_e32 v129, 0                                      // 000000002C9C: 7F020280
	v_mov_b32_e32 v66, 0                                       // 000000002CA0: 7E840280
	v_mov_b32_e32 v130, 0                                      // 000000002CA4: 7F040280
	v_mov_b32_e32 v67, 0                                       // 000000002CA8: 7E860280
	v_mov_b32_e32 v131, 0                                      // 000000002CAC: 7F060280
	v_mov_b32_e32 v68, 0                                       // 000000002CB0: 7E880280
	v_mov_b32_e32 v132, 0                                      // 000000002CB4: 7F080280
	v_mov_b32_e32 v69, 0                                       // 000000002CB8: 7E8A0280
	v_mov_b32_e32 v133, 0                                      // 000000002CBC: 7F0A0280
	v_mov_b32_e32 v70, 0                                       // 000000002CC0: 7E8C0280
	v_mov_b32_e32 v134, 0                                      // 000000002CC4: 7F0C0280
	v_mov_b32_e32 v71, 0                                       // 000000002CC8: 7E8E0280
	v_mov_b32_e32 v135, 0                                      // 000000002CCC: 7F0E0280
	v_mov_b32_e32 v72, 0                                       // 000000002CD0: 7E900280
	v_mov_b32_e32 v136, 0                                      // 000000002CD4: 7F100280
	v_mov_b32_e32 v73, 0                                       // 000000002CD8: 7E920280
	v_mov_b32_e32 v137, 0                                      // 000000002CDC: 7F120280
	v_mov_b32_e32 v74, 0                                       // 000000002CE0: 7E940280
	v_mov_b32_e32 v138, 0                                      // 000000002CE4: 7F140280
	v_mov_b32_e32 v75, 0                                       // 000000002CE8: 7E960280
	v_mov_b32_e32 v139, 0                                      // 000000002CEC: 7F160280
	v_mov_b32_e32 v76, 0                                       // 000000002CF0: 7E980280
	v_mov_b32_e32 v140, 0                                      // 000000002CF4: 7F180280
	v_mov_b32_e32 v77, 0                                       // 000000002CF8: 7E9A0280
	v_mov_b32_e32 v141, 0                                      // 000000002CFC: 7F1A0280
	v_mov_b32_e32 v78, 0                                       // 000000002D00: 7E9C0280
	v_mov_b32_e32 v142, 0                                      // 000000002D04: 7F1C0280
	v_mov_b32_e32 v79, 0                                       // 000000002D08: 7E9E0280
	v_mov_b32_e32 v143, 0                                      // 000000002D0C: 7F1E0280
	v_mov_b32_e32 v80, 0                                       // 000000002D10: 7EA00280
	v_mov_b32_e32 v144, 0                                      // 000000002D14: 7F200280
	v_mov_b32_e32 v81, 0                                       // 000000002D18: 7EA20280
	v_mov_b32_e32 v145, 0                                      // 000000002D1C: 7F220280
	v_mov_b32_e32 v82, 0                                       // 000000002D20: 7EA40280
	v_mov_b32_e32 v146, 0                                      // 000000002D24: 7F240280
	v_mov_b32_e32 v83, 0                                       // 000000002D28: 7EA60280
	v_mov_b32_e32 v147, 0                                      // 000000002D2C: 7F260280
	v_mov_b32_e32 v84, 0                                       // 000000002D30: 7EA80280
	v_mov_b32_e32 v148, 0                                      // 000000002D34: 7F280280
	v_mov_b32_e32 v85, 0                                       // 000000002D38: 7EAA0280
	v_mov_b32_e32 v149, 0                                      // 000000002D3C: 7F2A0280
	v_mov_b32_e32 v86, 0                                       // 000000002D40: 7EAC0280
	v_mov_b32_e32 v150, 0                                      // 000000002D44: 7F2C0280
	v_mov_b32_e32 v87, 0                                       // 000000002D48: 7EAE0280
	v_mov_b32_e32 v151, 0                                      // 000000002D4C: 7F2E0280
	v_mov_b32_e32 v88, 0                                       // 000000002D50: 7EB00280
	v_mov_b32_e32 v152, 0                                      // 000000002D54: 7F300280
	v_mov_b32_e32 v89, 0                                       // 000000002D58: 7EB20280
	v_mov_b32_e32 v153, 0                                      // 000000002D5C: 7F320280
	v_mov_b32_e32 v90, 0                                       // 000000002D60: 7EB40280
	v_mov_b32_e32 v154, 0                                      // 000000002D64: 7F340280
	v_mov_b32_e32 v91, 0                                       // 000000002D68: 7EB60280
	v_mov_b32_e32 v155, 0                                      // 000000002D6C: 7F360280
	v_mov_b32_e32 v92, 0                                       // 000000002D70: 7EB80280
	v_mov_b32_e32 v156, 0                                      // 000000002D74: 7F380280
	v_mov_b32_e32 v93, 0                                       // 000000002D78: 7EBA0280
	v_mov_b32_e32 v157, 0                                      // 000000002D7C: 7F3A0280
	v_mov_b32_e32 v94, 0                                       // 000000002D80: 7EBC0280
	v_mov_b32_e32 v158, 0                                      // 000000002D84: 7F3C0280
	v_mov_b32_e32 v95, 0                                       // 000000002D88: 7EBE0280
	v_mov_b32_e32 v159, 0                                      // 000000002D8C: 7F3E0280
	v_mov_b32_e32 v96, 0                                       // 000000002D90: 7EC00280
	v_mov_b32_e32 v160, 0                                      // 000000002D94: 7F400280
	v_mov_b32_e32 v97, 0                                       // 000000002D98: 7EC20280
	v_mov_b32_e32 v161, 0                                      // 000000002D9C: 7F420280
	v_mov_b32_e32 v98, 0                                       // 000000002DA0: 7EC40280
	v_mov_b32_e32 v162, 0                                      // 000000002DA4: 7F440280
	v_mov_b32_e32 v99, 0                                       // 000000002DA8: 7EC60280
	v_mov_b32_e32 v163, 0                                      // 000000002DAC: 7F460280
	v_mov_b32_e32 v100, 0                                      // 000000002DB0: 7EC80280
	v_mov_b32_e32 v164, 0                                      // 000000002DB4: 7F480280
	v_mov_b32_e32 v101, 0                                      // 000000002DB8: 7ECA0280
	v_mov_b32_e32 v165, 0                                      // 000000002DBC: 7F4A0280
	v_mov_b32_e32 v102, 0                                      // 000000002DC0: 7ECC0280
	v_mov_b32_e32 v166, 0                                      // 000000002DC4: 7F4C0280
	v_mov_b32_e32 v103, 0                                      // 000000002DC8: 7ECE0280
	v_mov_b32_e32 v167, 0                                      // 000000002DCC: 7F4E0280
	v_mov_b32_e32 v104, 0                                      // 000000002DD0: 7ED00280
	v_mov_b32_e32 v168, 0                                      // 000000002DD4: 7F500280
	v_mov_b32_e32 v105, 0                                      // 000000002DD8: 7ED20280
	v_mov_b32_e32 v169, 0                                      // 000000002DDC: 7F520280
	v_mov_b32_e32 v106, 0                                      // 000000002DE0: 7ED40280
	v_mov_b32_e32 v170, 0                                      // 000000002DE4: 7F540280
	v_mov_b32_e32 v107, 0                                      // 000000002DE8: 7ED60280
	v_mov_b32_e32 v171, 0                                      // 000000002DEC: 7F560280
	v_mov_b32_e32 v108, 0                                      // 000000002DF0: 7ED80280
	v_mov_b32_e32 v172, 0                                      // 000000002DF4: 7F580280
	v_mov_b32_e32 v109, 0                                      // 000000002DF8: 7EDA0280
	v_mov_b32_e32 v173, 0                                      // 000000002DFC: 7F5A0280
	v_mov_b32_e32 v110, 0                                      // 000000002E00: 7EDC0280
	v_mov_b32_e32 v174, 0                                      // 000000002E04: 7F5C0280
	v_mov_b32_e32 v111, 0                                      // 000000002E08: 7EDE0280
	v_mov_b32_e32 v175, 0                                      // 000000002E0C: 7F5E0280
	v_mov_b32_e32 v112, 0                                      // 000000002E10: 7EE00280
	v_mov_b32_e32 v176, 0                                      // 000000002E14: 7F600280
	v_mov_b32_e32 v113, 0                                      // 000000002E18: 7EE20280
	v_mov_b32_e32 v177, 0                                      // 000000002E1C: 7F620280
	v_mov_b32_e32 v114, 0                                      // 000000002E20: 7EE40280
	v_mov_b32_e32 v178, 0                                      // 000000002E24: 7F640280
	v_mov_b32_e32 v115, 0                                      // 000000002E28: 7EE60280
	v_mov_b32_e32 v179, 0                                      // 000000002E2C: 7F660280
	v_mov_b32_e32 v116, 0                                      // 000000002E30: 7EE80280
	v_mov_b32_e32 v180, 0                                      // 000000002E34: 7F680280
	v_mov_b32_e32 v117, 0                                      // 000000002E38: 7EEA0280
	v_mov_b32_e32 v181, 0                                      // 000000002E3C: 7F6A0280
	v_mov_b32_e32 v118, 0                                      // 000000002E40: 7EEC0280
	v_mov_b32_e32 v182, 0                                      // 000000002E44: 7F6C0280
	v_mov_b32_e32 v119, 0                                      // 000000002E48: 7EEE0280
	v_mov_b32_e32 v183, 0                                      // 000000002E4C: 7F6E0280
	v_mov_b32_e32 v120, 0                                      // 000000002E50: 7EF00280
	v_mov_b32_e32 v184, 0                                      // 000000002E54: 7F700280
	v_mov_b32_e32 v121, 0                                      // 000000002E58: 7EF20280
	v_mov_b32_e32 v185, 0                                      // 000000002E5C: 7F720280
	v_mov_b32_e32 v122, 0                                      // 000000002E60: 7EF40280
	v_mov_b32_e32 v186, 0                                      // 000000002E64: 7F740280
	v_mov_b32_e32 v123, 0                                      // 000000002E68: 7EF60280
	v_mov_b32_e32 v187, 0                                      // 000000002E6C: 7F760280
	s_mul_i32 s60, s2, 0x200                                   // 000000002E70: 923CFF02 00000200
	s_cmp_eq_u32 s88, 0                                        // 000000002E78: BF068058
	s_cselect_b32 s61, 1, 2                                    // 000000002E7C: 853D8281
	s_mul_i32 s60, s60, s61                                    // 000000002E80: 923C3D3C
	s_mov_b32 s90, s8                                          // 000000002E84: BEDA0008
	s_mov_b32 s91, s9                                          // 000000002E88: BEDB0009
	s_add_u32 s8, s60, s8                                      // 000000002E8C: 8008083C
	s_addc_u32 s9, 0, s9                                       // 000000002E90: 82090980
	v_lshrrev_b32_e32 v4, 4, v0                                // 000000002E94: 20080084
	v_mul_lo_u32 v20, 34, v4                                   // 000000002E98: D2850014 000208A2
	v_and_b32_e32 v4, 15, v0                                   // 000000002EA0: 2608008F
	v_mul_lo_u32 v5, 2, v4                                     // 000000002EA4: D2850005 00020882
	v_add_u32_e32 v20, v5, v20                                 // 000000002EAC: 68282905
	s_mul_i32 s60, s7, 0x88                                    // 000000002EB0: 923CFF07 00000088
	v_add_u32_e32 v20, s60, v20                                // 000000002EB8: 6828283C
	v_lshlrev_b32_e32 v20, 2, v20                              // 000000002EBC: 24282882
	v_and_b32_e32 v4, 31, v0                                   // 000000002EC0: 2608009F
	v_lshrrev_b32_e32 v4, 1, v4                                // 000000002EC4: 20080881
	v_mul_lo_u32 v21, 34, v4                                   // 000000002EC8: D2850015 000208A2
	v_lshrrev_b32_e32 v4, 5, v0                                // 000000002ED0: 20080085
	v_mul_lo_u32 v4, 8, v4                                     // 000000002ED4: D2850004 00020888
	v_add_u32_e32 v21, v21, v4                                 // 000000002EDC: 682A0915
	v_and_b32_e32 v5, 1, v0                                    // 000000002EE0: 260A0081
	v_add_u32_e32 v21, v5, v21                                 // 000000002EE4: 682A2B05
	s_mul_i32 s60, s7, 2                                       // 000000002EE8: 923C8207
	v_add_u32_e32 v21, s60, v21                                // 000000002EEC: 682A2A3C
	v_lshlrev_b32_e32 v21, 2, v21                              // 000000002EF0: 242A2A82
	s_mul_i32 s60, s7, 0x820                                   // 000000002EF4: 923CFF07 00000820
	s_add_u32 s48, 0, s60                                      // 000000002EFC: 80303C80
	s_add_u32 s49, 0x2080, s48                                 // 000000002F00: 803130FF 00002080
	s_add_u32 s50, 0x2080, s49                                 // 000000002F08: 803231FF 00002080
	v_lshrrev_b32_e32 v4, 4, v0                                // 000000002F10: 20080084
	v_lshlrev_b32_e32 v5, 2, v4                                // 000000002F14: 240A0882
	v_and_b32_e32 v4, 15, v0                                   // 000000002F18: 2608008F
	v_lshrrev_b32_e32 v6, 2, v4                                // 000000002F1C: 200C0882
	v_lshlrev_b32_e32 v6, 5, v6                                // 000000002F20: 240C0C85
	v_add_u32_e32 v5, v6, v5                                   // 000000002F24: 680A0B06
	v_and_b32_e32 v4, 3, v0                                    // 000000002F28: 26080083
	v_mul_u32_u24_e32 v6, 0x208, v4                            // 000000002F2C: 100C08FF 00000208
	v_add_u32_e32 v5, v6, v5                                   // 000000002F34: 680A0B06
	v_lshlrev_b32_e32 v2, 2, v5                                // 000000002F38: 24040A82
	s_waitcnt lgkmcnt(0)                                       // 000000002F3C: BF8CC07F
	s_mul_i32 s60, s2, 0x100                                   // 000000002F40: 923CFF02 00000100
	s_mul_i32 s60, s60, s69                                    // 000000002F48: 923C453C
	s_mul_i32 s61, s5, s72                                     // 000000002F4C: 923D4805
	s_add_u32 s60, s61, s60                                    // 000000002F50: 803C3C3D
	s_add_u32 s24, s60, s24                                    // 000000002F54: 8018183C
	s_addc_u32 s25, 0, s25                                     // 000000002F58: 82191980
	s_lshr_b32 s60, s64, s88                                   // 000000002F5C: 8F3C5840
	s_mul_i32 s60, s4, s60                                     // 000000002F60: 923C3C04
	s_lshr_b32 s60, s60, 7                                     // 000000002F64: 8F3C873C
	s_mul_i32 s60, s60, 0x800                                  // 000000002F68: 923CFF3C 00000800
	s_add_u32 s24, s60, s24                                    // 000000002F70: 8018183C
	s_addc_u32 s25, 0, s25                                     // 000000002F74: 82191980
	s_lshr_b32 s60, s69, s88                                   // 000000002F78: 8F3C5845
	s_mul_i32 s60, s4, s60                                     // 000000002F7C: 923C3C04
	s_add_u32 s20, s60, s20                                    // 000000002F80: 8014143C
	s_addc_u32 s21, 0, s21                                     // 000000002F84: 82151580
	s_mul_i32 s60, s7, 16                                      // 000000002F88: 923C9007
	s_mul_i32 s60, s60, s69                                    // 000000002F8C: 923C453C
	v_lshlrev_b32_e32 v54, 4, v0                               // 000000002F90: 246C0084
	v_add_u32_e32 v54, s60, v54                                // 000000002F94: 686C6C3C
	s_mul_i32 s60, 64, s69                                     // 000000002F98: 923C45C0
	v_add_u32_e32 v55, s60, v54                                // 000000002F9C: 686E6C3C
	v_add_u32_e32 v56, s60, v55                                // 000000002FA0: 68706E3C
	v_add_u32_e32 v57, s60, v56                                // 000000002FA4: 6872703C
	s_mov_b32 s84, s24                                         // 000000002FA8: BED40018
	s_mov_b32 s85, s25                                         // 000000002FAC: BED50019
	s_mov_b32 s86, s26                                         // 000000002FB0: BED6001A
	s_mov_b32 s87, s27                                         // 000000002FB4: BED7001B
	s_mul_i32 s60, s69, s65                                    // 000000002FB8: 923C4145
	s_add_u32 s84, s60, s84                                    // 000000002FBC: 8054543C
	s_addc_u32 s85, 0, s85                                     // 000000002FC0: 82555580
	v_lshrrev_b32_e32 v4, 4, v0                                // 000000002FC4: 20080084
	v_lshlrev_b32_e32 v5, 2, v4                                // 000000002FC8: 240A0882
	v_and_b32_e32 v4, 15, v0                                   // 000000002FCC: 2608008F
	v_lshrrev_b32_e32 v6, 2, v4                                // 000000002FD0: 200C0882
	v_lshlrev_b32_e32 v6, 6, v6                                // 000000002FD4: 240C0C86
	v_add_u32_e32 v5, v6, v5                                   // 000000002FD8: 680A0B06
	v_and_b32_e32 v4, 3, v0                                    // 000000002FDC: 26080083
	v_add_u32_e32 v5, v4, v5                                   // 000000002FE0: 680A0B04
	v_lshlrev_b32_e32 v22, 2, v5                               // 000000002FE4: 242C0A82
	s_mul_i32 s60, s7, 16                                      // 000000002FE8: 923C9007
	s_mul_i32 s60, s60, 4                                      // 000000002FEC: 923C843C
	v_add_u32_e32 v22, s60, v22                                // 000000002FF0: 682C2C3C
	s_mul_i32 s60, s2, 0x100                                   // 000000002FF4: 923CFF02 00000100
	s_mul_i32 s60, s60, 4                                      // 000000002FFC: 923C843C
	s_mul_i32 s61, s5, s74                                     // 000000003000: 923D4A05
	s_add_u32 s61, s61, s60                                    // 000000003004: 803D3C3D
	s_add_u32 s32, s61, s32                                    // 000000003008: 8020203D
	s_addc_u32 s33, 0, s33                                     // 00000000300C: 82212180
	s_mov_b32 s57, 0x80                                        // 000000003010: BEB900FF 00000080
	s_mov_b32 s58, 0x800                                       // 000000003018: BEBA00FF 00000800
	s_mov_b32 s83, s58                                         // 000000003020: BED3003A
	s_mov_b32 s52, 0x7060302                                   // 000000003024: BEB400FF 07060302
	s_mov_b32 s53, 0x400                                       // 00000000302C: BEB500FF 00000400
	s_mov_b32 s54, 0x40100                                     // 000000003034: BEB600FF 00040100
	s_mov_b32 s55, 0x4020100                                   // 00000000303C: BEB700FF 04020100
	s_mov_b32 s6, 0x3fb8aa3b                                   // 000000003044: BE8600FF 3FB8AA3B
	s_mov_b32 s78, 0xbd92220c                                  // 00000000304C: BECE00FF BD92220C
	s_mov_b32 s79, 0xbd92220c                                  // 000000003054: BECF00FF BD92220C
	s_mov_b32 m0, s48                                          // 00000000305C: BEFC0030
	v_mov_b32_e32 v1, 0xbfcc4231                               // 000000003060: 7E0202FF BFCC4231
	v_mov_b32_e32 v17, 0xffff0000                              // 000000003068: 7E2202FF FFFF0000
	v_mov_b32_e32 v18, 0x7fff0000                              // 000000003070: 7E2402FF 7FFF0000
	v_mov_b32_e32 v19, 0x7fff                                  // 000000003078: 7E2602FF 00007FFF
	s_waitcnt vmcnt(0) expcnt(0) lgkmcnt(0)                    // 000000003080: BF8C0000
	v_lshrrev_b32_e32 v4, 5, v0                                // 000000003084: 20080085
	v_xor_b32_e32 v5, 1, v4                                    // 000000003088: 2A0A0881
	v_readlane_b32 s82, v3, 0                                  // 00000000308C: D2890052 00010103
	s_and_b32 s82, s82, 0xffffff                               // 000000003094: 8652FF52 00FFFFFF
	v_mul_lo_u32 v6, v5, s82                                   // 00000000309C: D2850006 0000A505
	v_readlane_b32 s82, v3, 1                                  // 0000000030A4: D2890052 00010303
	s_and_b32 s82, s82, 0xffffff                               // 0000000030AC: 8652FF52 00FFFFFF
	v_mul_lo_u32 v7, v4, s82                                   // 0000000030B4: D2850007 0000A504
	v_add_u32_e32 v46, v6, v7                                  // 0000000030BC: 685C0F06
	v_mul_lo_u32 v46, v46, s68                                 // 0000000030C0: D285002E 0000892E
	v_readlane_b32 s82, v3, 2                                  // 0000000030C8: D2890052 00010503
	s_and_b32 s82, s82, 0xffffff                               // 0000000030D0: 8652FF52 00FFFFFF
	v_mul_lo_u32 v6, v5, s82                                   // 0000000030D8: D2850006 0000A505
	v_readlane_b32 s82, v3, 3                                  // 0000000030E0: D2890052 00010703
	s_and_b32 s82, s82, 0xffffff                               // 0000000030E8: 8652FF52 00FFFFFF
	v_mul_lo_u32 v7, v4, s82                                   // 0000000030F0: D2850007 0000A504
	v_add_u32_e32 v47, v6, v7                                  // 0000000030F8: 685E0F06
	v_mul_lo_u32 v47, v47, s68                                 // 0000000030FC: D285002F 0000892F
	v_readlane_b32 s82, v3, 4                                  // 000000003104: D2890052 00010903
	s_and_b32 s82, s82, 0xffffff                               // 00000000310C: 8652FF52 00FFFFFF
	v_mul_lo_u32 v6, v5, s82                                   // 000000003114: D2850006 0000A505
	v_readlane_b32 s82, v3, 5                                  // 00000000311C: D2890052 00010B03
	s_and_b32 s82, s82, 0xffffff                               // 000000003124: 8652FF52 00FFFFFF
	v_mul_lo_u32 v7, v4, s82                                   // 00000000312C: D2850007 0000A504
	v_add_u32_e32 v48, v6, v7                                  // 000000003134: 68600F06
	v_mul_lo_u32 v48, v48, s68                                 // 000000003138: D2850030 00008930
	v_readlane_b32 s82, v3, 6                                  // 000000003140: D2890052 00010D03
	s_and_b32 s82, s82, 0xffffff                               // 000000003148: 8652FF52 00FFFFFF
	v_mul_lo_u32 v6, v5, s82                                   // 000000003150: D2850006 0000A505
	v_readlane_b32 s82, v3, 7                                  // 000000003158: D2890052 00010F03
	s_and_b32 s82, s82, 0xffffff                               // 000000003160: 8652FF52 00FFFFFF
	v_mul_lo_u32 v7, v4, s82                                   // 000000003168: D2850007 0000A504
	v_add_u32_e32 v49, v6, v7                                  // 000000003170: 68620F06
	v_mul_lo_u32 v49, v49, s68                                 // 000000003174: D2850031 00008931
	v_readlane_b32 s82, v3, 8                                  // 00000000317C: D2890052 00011103
	s_and_b32 s82, s82, 0xffffff                               // 000000003184: 8652FF52 00FFFFFF
	v_mul_lo_u32 v6, v5, s82                                   // 00000000318C: D2850006 0000A505
	v_readlane_b32 s82, v3, 9                                  // 000000003194: D2890052 00011303
	s_and_b32 s82, s82, 0xffffff                               // 00000000319C: 8652FF52 00FFFFFF
	v_mul_lo_u32 v7, v4, s82                                   // 0000000031A4: D2850007 0000A504
	v_add_u32_e32 v50, v6, v7                                  // 0000000031AC: 68640F06
	v_mul_lo_u32 v50, v50, s68                                 // 0000000031B0: D2850032 00008932
	v_readlane_b32 s82, v3, 10                                 // 0000000031B8: D2890052 00011503
	s_and_b32 s82, s82, 0xffffff                               // 0000000031C0: 8652FF52 00FFFFFF
	v_mul_lo_u32 v6, v5, s82                                   // 0000000031C8: D2850006 0000A505
	v_readlane_b32 s82, v3, 11                                 // 0000000031D0: D2890052 00011703
	s_and_b32 s82, s82, 0xffffff                               // 0000000031D8: 8652FF52 00FFFFFF
	v_mul_lo_u32 v7, v4, s82                                   // 0000000031E0: D2850007 0000A504
	v_add_u32_e32 v51, v6, v7                                  // 0000000031E8: 68660F06
	v_mul_lo_u32 v51, v51, s68                                 // 0000000031EC: D2850033 00008933
	v_readlane_b32 s82, v3, 12                                 // 0000000031F4: D2890052 00011903
	s_and_b32 s82, s82, 0xffffff                               // 0000000031FC: 8652FF52 00FFFFFF
	v_mul_lo_u32 v6, v5, s82                                   // 000000003204: D2850006 0000A505
	v_readlane_b32 s82, v3, 13                                 // 00000000320C: D2890052 00011B03
	s_and_b32 s82, s82, 0xffffff                               // 000000003214: 8652FF52 00FFFFFF
	v_mul_lo_u32 v7, v4, s82                                   // 00000000321C: D2850007 0000A504
	v_add_u32_e32 v52, v6, v7                                  // 000000003224: 68680F06
	v_mul_lo_u32 v52, v52, s68                                 // 000000003228: D2850034 00008934
	v_readlane_b32 s82, v3, 14                                 // 000000003230: D2890052 00011D03
	s_and_b32 s82, s82, 0xffffff                               // 000000003238: 8652FF52 00FFFFFF
	v_mul_lo_u32 v6, v5, s82                                   // 000000003240: D2850006 0000A505
	v_readlane_b32 s82, v3, 15                                 // 000000003248: D2890052 00011F03
	s_and_b32 s82, s82, 0xffffff                               // 000000003250: 8652FF52 00FFFFFF
	v_mul_lo_u32 v7, v4, s82                                   // 000000003258: D2850007 0000A504
	v_add_u32_e32 v53, v6, v7                                  // 000000003260: 686A0F06
	v_mul_lo_u32 v53, v53, s68                                 // 000000003264: D2850035 00008935
	v_and_b32_e32 v4, 31, v0                                   // 00000000326C: 2608009F
	v_lshlrev_b32_e32 v4, 2, v4                                // 000000003270: 24080882
	v_add_u32_e32 v46, v46, v4                                 // 000000003274: 685C092E
	v_add_u32_e32 v47, v47, v4                                 // 000000003278: 685E092F
	v_add_u32_e32 v48, v48, v4                                 // 00000000327C: 68600930
	v_add_u32_e32 v49, v49, v4                                 // 000000003280: 68620931
	v_add_u32_e32 v50, v50, v4                                 // 000000003284: 68640932
	;; [unrolled: 1-line block ×3, first 2 shown]
	v_add_u32_e32 v52, v52, v4                                 // 00000000328C: 68680934
	v_add_u32_e32 v53, v53, v4                                 // 000000003290: 686A0935
	v_and_b32_e32 v30, 0xffffff, v30                           // 000000003294: 263C3CFF 00FFFFFF
	v_lshlrev_b32_e32 v30, 2, v30                              // 00000000329C: 243C3C82
	v_and_b32_e32 v31, 0xffffff, v31                           // 0000000032A0: 263E3EFF 00FFFFFF
	v_lshlrev_b32_e32 v31, 2, v31                              // 0000000032A8: 243E3E82
	v_and_b32_e32 v32, 0xffffff, v32                           // 0000000032AC: 264040FF 00FFFFFF
	v_lshlrev_b32_e32 v32, 2, v32                              // 0000000032B4: 24404082
	v_and_b32_e32 v33, 0xffffff, v33                           // 0000000032B8: 264242FF 00FFFFFF
	v_lshlrev_b32_e32 v33, 2, v33                              // 0000000032C0: 24424282
	s_lshl_b32 s3, s66, 2                                      // 0000000032C4: 8E038242
	buffer_load_dword v34, v30, s[28:31], 0 offen              // 0000000032C8: E0501000 8007221E
	buffer_load_dword v35, v31, s[28:31], 0 offen              // 0000000032D0: E0501000 8007231F
	buffer_load_dword v36, v32, s[28:31], 0 offen              // 0000000032D8: E0501000 80072420
	buffer_load_dword v37, v33, s[28:31], 0 offen              // 0000000032E0: E0501000 80072521
	buffer_load_dword v24, v22, s[32:35], 0 offen              // 0000000032E8: E0501000 80081816
	s_mul_i32 s60, 4, s65                                      // 0000000032F0: 923C4184
	s_add_u32 s32, s60, s32                                    // 0000000032F4: 8020203C
	s_addc_u32 s33, 0, s33                                     // 0000000032F8: 82212180
	buffer_load_dword v27, v22, s[32:35], 0 offen              // 0000000032FC: E0501000 80081B16
	buffer_load_dword v46, s[20:23], 0 offen lds               // 000000003304: E0511000 8005002E
	s_add_u32 m0, 0x100, s48                                   // 00000000330C: 807C30FF 00000100
	buffer_load_dword v47, s[20:23], 0 offen lds               // 000000003314: E0511000 8005002F
	s_add_u32 m0, 0x200, s48                                   // 00000000331C: 807C30FF 00000200
	buffer_load_dword v48, s[20:23], 0 offen lds               // 000000003324: E0511000 80050030
	s_add_u32 m0, 0x300, s48                                   // 00000000332C: 807C30FF 00000300
	buffer_load_dword v49, s[20:23], 0 offen lds               // 000000003334: E0511000 80050031
	s_add_u32 m0, 0x400, s48                                   // 00000000333C: 807C30FF 00000400
	buffer_load_dword v50, s[20:23], 0 offen lds               // 000000003344: E0511000 80050032
	s_add_u32 m0, 0x500, s48                                   // 00000000334C: 807C30FF 00000500
	buffer_load_dword v51, s[20:23], 0 offen lds               // 000000003354: E0511000 80050033
	s_add_u32 m0, 0x600, s48                                   // 00000000335C: 807C30FF 00000600
	buffer_load_dword v52, s[20:23], 0 offen lds               // 000000003364: E0511000 80050034
	s_add_u32 m0, 0x700, s48                                   // 00000000336C: 807C30FF 00000700
	buffer_load_dword v53, s[20:23], 0 offen lds               // 000000003374: E0511000 80050035
	s_add_u32 m0, 0, s49                                       // 00000000337C: 807C3180
	s_add_u32 s20, s57, s20                                    // 000000003380: 80141439
	s_addc_u32 s21, 0, s21                                     // 000000003384: 82151580
	buffer_load_dwordx4 a[64:67], v54, s[24:27], 0 offen       // 000000003388: E05C1000 80864036
	buffer_load_dwordx4 a[68:71], v54, s[24:27], 0 offen offset:1024// 000000003390: E05C1400 80864436
	buffer_load_dwordx4 a[72:75], v55, s[24:27], 0 offen       // 000000003398: E05C1000 80864837
	buffer_load_dwordx4 a[76:79], v55, s[24:27], 0 offen offset:1024// 0000000033A0: E05C1400 80864C37
	buffer_load_dwordx4 a[80:83], v56, s[24:27], 0 offen       // 0000000033A8: E05C1000 80865038
	buffer_load_dwordx4 a[84:87], v56, s[24:27], 0 offen offset:1024// 0000000033B0: E05C1400 80865438
	buffer_load_dwordx4 a[88:91], v57, s[24:27], 0 offen       // 0000000033B8: E05C1000 80865839
	buffer_load_dwordx4 a[92:95], v57, s[24:27], 0 offen offset:1024// 0000000033C0: E05C1400 80865C39
	s_add_u32 s24, s58, s24                                    // 0000000033C8: 8018183A
	s_addc_u32 s25, 0, s25                                     // 0000000033CC: 82191980
	buffer_load_dword v46, s[20:23], 0 offen lds               // 0000000033D0: E0511000 8005002E
	s_add_u32 m0, 0x100, s49                                   // 0000000033D8: 807C31FF 00000100
	buffer_load_dword v47, s[20:23], 0 offen lds               // 0000000033E0: E0511000 8005002F
	s_add_u32 m0, 0x200, s49                                   // 0000000033E8: 807C31FF 00000200
	buffer_load_dword v48, s[20:23], 0 offen lds               // 0000000033F0: E0511000 80050030
	s_add_u32 m0, 0x300, s49                                   // 0000000033F8: 807C31FF 00000300
	buffer_load_dword v49, s[20:23], 0 offen lds               // 000000003400: E0511000 80050031
	s_add_u32 m0, 0x400, s49                                   // 000000003408: 807C31FF 00000400
	buffer_load_dword v50, s[20:23], 0 offen lds               // 000000003410: E0511000 80050032
	s_add_u32 m0, 0x500, s49                                   // 000000003418: 807C31FF 00000500
	;; [unrolled: 2-line block ×4, first 2 shown]
	buffer_load_dword v53, s[20:23], 0 offen lds               // 000000003440: E0511000 80050035
	s_add_u32 m0, 0, s50                                       // 000000003448: 807C3280
	s_add_u32 s20, s57, s20                                    // 00000000344C: 80141439
	s_addc_u32 s21, 0, s21                                     // 000000003450: 82151580
	buffer_load_dwordx4 a[96:99], v54, s[84:87], 0 offen       // 000000003454: E05C1000 80956036
	buffer_load_dwordx4 a[100:103], v54, s[84:87], 0 offen offset:1024// 00000000345C: E05C1400 80956436
	buffer_load_dwordx4 a[104:107], v55, s[84:87], 0 offen     // 000000003464: E05C1000 80956837
	buffer_load_dwordx4 a[108:111], v55, s[84:87], 0 offen offset:1024// 00000000346C: E05C1400 80956C37
	buffer_load_dwordx4 a[112:115], v56, s[84:87], 0 offen     // 000000003474: E05C1000 80957038
	buffer_load_dwordx4 a[116:119], v56, s[84:87], 0 offen offset:1024// 00000000347C: E05C1400 80957438
	buffer_load_dwordx4 a[120:123], v57, s[84:87], 0 offen     // 000000003484: E05C1000 80957839
	buffer_load_dwordx4 a[124:127], v57, s[84:87], 0 offen offset:1024// 00000000348C: E05C1400 80957C39
	s_add_u32 s84, s83, s84                                    // 000000003494: 80545453
	s_addc_u32 s85, 0, s85                                     // 000000003498: 82555580
	s_waitcnt vmcnt(24)                                        // 00000000349C: BF8C4F78
	s_barrier                                                  // 0000000034A0: BF8A0000
	ds_read_b128 a[0:3], v2                                    // 0000000034A4: DBFE0000 00000002
	ds_read_b128 a[4:7], v2 offset:64                          // 0000000034AC: DBFE0040 04000002
	ds_read_b128 a[8:11], v2 offset:512                        // 0000000034B4: DBFE0200 08000002
	ds_read_b128 a[12:15], v2 offset:576                       // 0000000034BC: DBFE0240 0C000002
	ds_read_b128 a[16:19], v2 offset:1024                      // 0000000034C4: DBFE0400 10000002
	ds_read_b128 a[20:23], v2 offset:1088                      // 0000000034CC: DBFE0440 14000002
	ds_read_b128 a[24:27], v2 offset:1536                      // 0000000034D4: DBFE0600 18000002
	ds_read_b128 a[28:31], v2 offset:1600                      // 0000000034DC: DBFE0640 1C000002
	s_cmp_lt_i32 s7, 2                                         // 0000000034E4: BF048207
	s_cbranch_scc0 label_1ABE                                  // 0000000034E8: BF841800

00000000000034ec <label_02BB>:
	s_waitcnt vmcnt(16) lgkmcnt(0)                             // 0000000034EC: BF8C4070
	v_mfma_i32_16x16x32_i8 v[60:63], a[64:65], a[0:1], v[60:63]// 0000000034F0: D3D7003C 1CF20140
	v_mfma_i32_16x16x32_i8 v[60:63], a[66:67], a[2:3], v[60:63]// 0000000034F8: D3D7003C 1CF20542
	buffer_load_dwordx4 a[128:131], v54, s[24:27], 0 offen     // 000000003500: E05C1000 80868036
	v_mfma_i32_16x16x32_i8 v[60:63], a[68:69], a[4:5], v[60:63]// 000000003508: D3D7003C 1CF20944
	v_mfma_i32_16x16x32_i8 v[60:63], a[70:71], a[6:7], v[60:63]// 000000003510: D3D7003C 1CF20D46
	v_mfma_i32_16x16x32_i8 v[76:79], a[72:73], a[0:1], v[76:79]// 000000003518: D3D7004C 1D320148
	v_mfma_i32_16x16x32_i8 v[76:79], a[74:75], a[2:3], v[76:79]// 000000003520: D3D7004C 1D32054A
	buffer_load_dwordx4 a[132:135], v54, s[24:27], 0 offen offset:1024// 000000003528: E05C1400 80868436
	v_mfma_i32_16x16x32_i8 v[76:79], a[76:77], a[4:5], v[76:79]// 000000003530: D3D7004C 1D32094C
	v_mfma_i32_16x16x32_i8 v[76:79], a[78:79], a[6:7], v[76:79]// 000000003538: D3D7004C 1D320D4E
	v_mfma_i32_16x16x32_i8 v[92:95], a[80:81], a[0:1], v[92:95]// 000000003540: D3D7005C 1D720150
	v_mfma_i32_16x16x32_i8 v[92:95], a[82:83], a[2:3], v[92:95]// 000000003548: D3D7005C 1D720552
	buffer_load_dwordx4 a[136:139], v55, s[24:27], 0 offen     // 000000003550: E05C1000 80868837
	v_mfma_i32_16x16x32_i8 v[92:95], a[84:85], a[4:5], v[92:95]// 000000003558: D3D7005C 1D720954
	v_mfma_i32_16x16x32_i8 v[92:95], a[86:87], a[6:7], v[92:95]// 000000003560: D3D7005C 1D720D56
	v_mfma_i32_16x16x32_i8 v[108:111], a[88:89], a[0:1], v[108:111]// 000000003568: D3D7006C 1DB20158
	v_mfma_i32_16x16x32_i8 v[108:111], a[90:91], a[2:3], v[108:111]// 000000003570: D3D7006C 1DB2055A
	buffer_load_dwordx4 a[140:143], v55, s[24:27], 0 offen offset:1024// 000000003578: E05C1400 80868C37
	v_mfma_i32_16x16x32_i8 v[108:111], a[92:93], a[4:5], v[108:111]// 000000003580: D3D7006C 1DB2095C
	v_mfma_i32_16x16x32_i8 v[108:111], a[94:95], a[6:7], v[108:111]// 000000003588: D3D7006C 1DB20D5E
	v_mfma_i32_16x16x32_i8 v[64:67], a[64:65], a[8:9], v[64:67]// 000000003590: D3D70040 1D021140
	v_mfma_i32_16x16x32_i8 v[64:67], a[66:67], a[10:11], v[64:67]// 000000003598: D3D70040 1D021542
	buffer_load_dwordx4 a[144:147], v56, s[24:27], 0 offen     // 0000000035A0: E05C1000 80869038
	v_mfma_i32_16x16x32_i8 v[64:67], a[68:69], a[12:13], v[64:67]// 0000000035A8: D3D70040 1D021944
	v_mfma_i32_16x16x32_i8 v[64:67], a[70:71], a[14:15], v[64:67]// 0000000035B0: D3D70040 1D021D46
	v_mfma_i32_16x16x32_i8 v[80:83], a[72:73], a[8:9], v[80:83]// 0000000035B8: D3D70050 1D421148
	v_mfma_i32_16x16x32_i8 v[80:83], a[74:75], a[10:11], v[80:83]// 0000000035C0: D3D70050 1D42154A
	buffer_load_dwordx4 a[148:151], v56, s[24:27], 0 offen offset:1024// 0000000035C8: E05C1400 80869438
	v_mfma_i32_16x16x32_i8 v[80:83], a[76:77], a[12:13], v[80:83]// 0000000035D0: D3D70050 1D42194C
	v_mfma_i32_16x16x32_i8 v[80:83], a[78:79], a[14:15], v[80:83]// 0000000035D8: D3D70050 1D421D4E
	v_mfma_i32_16x16x32_i8 v[96:99], a[80:81], a[8:9], v[96:99]// 0000000035E0: D3D70060 1D821150
	v_mfma_i32_16x16x32_i8 v[96:99], a[82:83], a[10:11], v[96:99]// 0000000035E8: D3D70060 1D821552
	buffer_load_dwordx4 a[152:155], v57, s[24:27], 0 offen     // 0000000035F0: E05C1000 80869839
	v_mfma_i32_16x16x32_i8 v[96:99], a[84:85], a[12:13], v[96:99]// 0000000035F8: D3D70060 1D821954
	v_mfma_i32_16x16x32_i8 v[96:99], a[86:87], a[14:15], v[96:99]// 000000003600: D3D70060 1D821D56
	v_mfma_i32_16x16x32_i8 v[112:115], a[88:89], a[8:9], v[112:115]// 000000003608: D3D70070 1DC21158
	v_mfma_i32_16x16x32_i8 v[112:115], a[90:91], a[10:11], v[112:115]// 000000003610: D3D70070 1DC2155A
	buffer_load_dwordx4 a[156:159], v57, s[24:27], 0 offen offset:1024// 000000003618: E05C1400 80869C39
	buffer_load_dword v46, s[20:23], 0 offen lds               // 000000003620: E0511000 8005002E
	s_add_u32 m0, 0x100, s50                                   // 000000003628: 807C32FF 00000100
	v_mfma_i32_16x16x32_i8 v[112:115], a[92:93], a[12:13], v[112:115]// 000000003630: D3D70070 1DC2195C
	v_mfma_i32_16x16x32_i8 v[112:115], a[94:95], a[14:15], v[112:115]// 000000003638: D3D70070 1DC21D5E
	buffer_load_dword v47, s[20:23], 0 offen lds               // 000000003640: E0511000 8005002F
	s_add_u32 m0, 0x200, s50                                   // 000000003648: 807C32FF 00000200
	v_mfma_i32_16x16x32_i8 v[68:71], a[64:65], a[16:17], v[68:71]// 000000003650: D3D70044 1D122140
	v_mfma_i32_16x16x32_i8 v[68:71], a[66:67], a[18:19], v[68:71]// 000000003658: D3D70044 1D122542
	buffer_load_dword v48, s[20:23], 0 offen lds               // 000000003660: E0511000 80050030
	s_add_u32 m0, 0x300, s50                                   // 000000003668: 807C32FF 00000300
	v_mfma_i32_16x16x32_i8 v[68:71], a[68:69], a[20:21], v[68:71]// 000000003670: D3D70044 1D122944
	v_mfma_i32_16x16x32_i8 v[68:71], a[70:71], a[22:23], v[68:71]// 000000003678: D3D70044 1D122D46
	buffer_load_dword v49, s[20:23], 0 offen lds               // 000000003680: E0511000 80050031
	s_add_u32 m0, 0x400, s50                                   // 000000003688: 807C32FF 00000400
	v_mfma_i32_16x16x32_i8 v[84:87], a[72:73], a[16:17], v[84:87]// 000000003690: D3D70054 1D522148
	v_mfma_i32_16x16x32_i8 v[84:87], a[74:75], a[18:19], v[84:87]// 000000003698: D3D70054 1D52254A
	buffer_load_dword v50, s[20:23], 0 offen lds               // 0000000036A0: E0511000 80050032
	s_add_u32 m0, 0x500, s50                                   // 0000000036A8: 807C32FF 00000500
	v_mfma_i32_16x16x32_i8 v[84:87], a[76:77], a[20:21], v[84:87]// 0000000036B0: D3D70054 1D52294C
	v_mfma_i32_16x16x32_i8 v[84:87], a[78:79], a[22:23], v[84:87]// 0000000036B8: D3D70054 1D522D4E
	buffer_load_dword v51, s[20:23], 0 offen lds               // 0000000036C0: E0511000 80050033
	s_add_u32 m0, 0x600, s50                                   // 0000000036C8: 807C32FF 00000600
	v_mfma_i32_16x16x32_i8 v[100:103], a[80:81], a[16:17], v[100:103]// 0000000036D0: D3D70064 1D922150
	v_mfma_i32_16x16x32_i8 v[100:103], a[82:83], a[18:19], v[100:103]// 0000000036D8: D3D70064 1D922552
	buffer_load_dword v52, s[20:23], 0 offen lds               // 0000000036E0: E0511000 80050034
	s_add_u32 m0, 0x700, s50                                   // 0000000036E8: 807C32FF 00000700
	v_mfma_i32_16x16x32_i8 v[100:103], a[84:85], a[20:21], v[100:103]// 0000000036F0: D3D70064 1D922954
	v_mfma_i32_16x16x32_i8 v[100:103], a[86:87], a[22:23], v[100:103]// 0000000036F8: D3D70064 1D922D56
	buffer_load_dword v53, s[20:23], 0 offen lds               // 000000003700: E0511000 80050035
	s_add_u32 m0, 0, s48                                       // 000000003708: 807C3080
	v_mfma_i32_16x16x32_i8 v[116:119], a[88:89], a[16:17], v[116:119]// 00000000370C: D3D70074 1DD22158
	v_mfma_i32_16x16x32_i8 v[116:119], a[90:91], a[18:19], v[116:119]// 000000003714: D3D70074 1DD2255A
	v_mfma_i32_16x16x32_i8 v[116:119], a[92:93], a[20:21], v[116:119]// 00000000371C: D3D70074 1DD2295C
	v_mfma_i32_16x16x32_i8 v[116:119], a[94:95], a[22:23], v[116:119]// 000000003724: D3D70074 1DD22D5E
	v_mfma_i32_16x16x32_i8 v[72:75], a[64:65], a[24:25], v[72:75]// 00000000372C: D3D70048 1D223140
	v_mfma_i32_16x16x32_i8 v[72:75], a[66:67], a[26:27], v[72:75]// 000000003734: D3D70048 1D223542
	v_mfma_i32_16x16x32_i8 v[72:75], a[68:69], a[28:29], v[72:75]// 00000000373C: D3D70048 1D223944
	v_mfma_i32_16x16x32_i8 v[72:75], a[70:71], a[30:31], v[72:75]// 000000003744: D3D70048 1D223D46
	v_mfma_i32_16x16x32_i8 v[88:91], a[72:73], a[24:25], v[88:91]// 00000000374C: D3D70058 1D623148
	v_mfma_i32_16x16x32_i8 v[88:91], a[74:75], a[26:27], v[88:91]// 000000003754: D3D70058 1D62354A
	v_mfma_i32_16x16x32_i8 v[88:91], a[76:77], a[28:29], v[88:91]// 00000000375C: D3D70058 1D62394C
	v_mfma_i32_16x16x32_i8 v[88:91], a[78:79], a[30:31], v[88:91]// 000000003764: D3D70058 1D623D4E
	v_mfma_i32_16x16x32_i8 v[104:107], a[80:81], a[24:25], v[104:107]// 00000000376C: D3D70068 1DA23150
	v_mfma_i32_16x16x32_i8 v[104:107], a[82:83], a[26:27], v[104:107]// 000000003774: D3D70068 1DA23552
	v_mfma_i32_16x16x32_i8 v[104:107], a[84:85], a[28:29], v[104:107]// 00000000377C: D3D70068 1DA23954
	v_mfma_i32_16x16x32_i8 v[104:107], a[86:87], a[30:31], v[104:107]// 000000003784: D3D70068 1DA23D56
	v_mfma_i32_16x16x32_i8 v[120:123], a[88:89], a[24:25], v[120:123]// 00000000378C: D3D70078 1DE23158
	v_mfma_i32_16x16x32_i8 v[120:123], a[90:91], a[26:27], v[120:123]// 000000003794: D3D70078 1DE2355A
	v_mfma_i32_16x16x32_i8 v[120:123], a[92:93], a[28:29], v[120:123]// 00000000379C: D3D70078 1DE2395C
	v_mfma_i32_16x16x32_i8 v[120:123], a[94:95], a[30:31], v[120:123]// 0000000037A4: D3D70078 1DE23D5E
	s_waitcnt vmcnt(16)                                        // 0000000037AC: BF8C4F70
	s_barrier                                                  // 0000000037B0: BF8A0000
	v_mfma_i32_16x16x32_i8 v[124:127], a[96:97], a[0:1], v[124:127]// 0000000037B4: D3D7007C 1DF20160
	v_mfma_i32_16x16x32_i8 v[124:127], a[98:99], a[2:3], v[124:127]// 0000000037BC: D3D7007C 1DF20562
	buffer_load_dwordx4 a[64:67], v54, s[84:87], 0 offen       // 0000000037C4: E05C1000 80954036
	v_mfma_i32_16x16x32_i8 v[124:127], a[100:101], a[4:5], v[124:127]// 0000000037CC: D3D7007C 1DF20964
	v_mfma_i32_16x16x32_i8 v[124:127], a[102:103], a[6:7], v[124:127]// 0000000037D4: D3D7007C 1DF20D66
	ds_read_b128 a[32:35], v2 offset:8320                      // 0000000037DC: DBFE2080 20000002
	ds_read_b128 a[36:39], v2 offset:8384                      // 0000000037E4: DBFE20C0 24000002
	v_mfma_i32_16x16x32_i8 v[140:143], a[104:105], a[0:1], v[140:143]// 0000000037EC: D3D7008C 1E320168
	v_mfma_i32_16x16x32_i8 v[140:143], a[106:107], a[2:3], v[140:143]// 0000000037F4: D3D7008C 1E32056A
	buffer_load_dwordx4 a[68:71], v54, s[84:87], 0 offen offset:1024// 0000000037FC: E05C1400 80954436
	v_mfma_i32_16x16x32_i8 v[140:143], a[108:109], a[4:5], v[140:143]// 000000003804: D3D7008C 1E32096C
	v_mfma_i32_16x16x32_i8 v[140:143], a[110:111], a[6:7], v[140:143]// 00000000380C: D3D7008C 1E320D6E
	ds_read_b128 a[40:43], v2 offset:8832                      // 000000003814: DBFE2280 28000002
	ds_read_b128 a[44:47], v2 offset:8896                      // 00000000381C: DBFE22C0 2C000002
	v_mfma_i32_16x16x32_i8 v[156:159], a[112:113], a[0:1], v[156:159]// 000000003824: D3D7009C 1E720170
	v_mfma_i32_16x16x32_i8 v[156:159], a[114:115], a[2:3], v[156:159]// 00000000382C: D3D7009C 1E720572
	buffer_load_dwordx4 a[72:75], v55, s[84:87], 0 offen       // 000000003834: E05C1000 80954837
	v_mfma_i32_16x16x32_i8 v[156:159], a[116:117], a[4:5], v[156:159]// 00000000383C: D3D7009C 1E720974
	v_mfma_i32_16x16x32_i8 v[156:159], a[118:119], a[6:7], v[156:159]// 000000003844: D3D7009C 1E720D76
	ds_read_b128 a[48:51], v2 offset:9344                      // 00000000384C: DBFE2480 30000002
	ds_read_b128 a[52:55], v2 offset:9408                      // 000000003854: DBFE24C0 34000002
	v_mfma_i32_16x16x32_i8 v[172:175], a[120:121], a[0:1], v[172:175]// 00000000385C: D3D700AC 1EB20178
	v_mfma_i32_16x16x32_i8 v[172:175], a[122:123], a[2:3], v[172:175]// 000000003864: D3D700AC 1EB2057A
	buffer_load_dwordx4 a[76:79], v55, s[84:87], 0 offen offset:1024// 00000000386C: E05C1400 80954C37
	v_mfma_i32_16x16x32_i8 v[172:175], a[124:125], a[4:5], v[172:175]// 000000003874: D3D700AC 1EB2097C
	v_mfma_i32_16x16x32_i8 v[172:175], a[126:127], a[6:7], v[172:175]// 00000000387C: D3D700AC 1EB20D7E
	ds_read_b128 a[56:59], v2 offset:9856                      // 000000003884: DBFE2680 38000002
	ds_read_b128 a[60:63], v2 offset:9920                      // 00000000388C: DBFE26C0 3C000002
	v_mfma_i32_16x16x32_i8 v[128:131], a[96:97], a[8:9], v[128:131]// 000000003894: D3D70080 1E021160
	v_mfma_i32_16x16x32_i8 v[128:131], a[98:99], a[10:11], v[128:131]// 00000000389C: D3D70080 1E021562
	buffer_load_dwordx4 a[80:83], v56, s[84:87], 0 offen       // 0000000038A4: E05C1000 80955038
	v_mfma_i32_16x16x32_i8 v[128:131], a[100:101], a[12:13], v[128:131]// 0000000038AC: D3D70080 1E021964
	v_mfma_i32_16x16x32_i8 v[128:131], a[102:103], a[14:15], v[128:131]// 0000000038B4: D3D70080 1E021D66
	v_mfma_i32_16x16x32_i8 v[144:147], a[104:105], a[8:9], v[144:147]// 0000000038BC: D3D70090 1E421168
	v_mfma_i32_16x16x32_i8 v[144:147], a[106:107], a[10:11], v[144:147]// 0000000038C4: D3D70090 1E42156A
	buffer_load_dwordx4 a[84:87], v56, s[84:87], 0 offen offset:1024// 0000000038CC: E05C1400 80955438
	v_mfma_i32_16x16x32_i8 v[144:147], a[108:109], a[12:13], v[144:147]// 0000000038D4: D3D70090 1E42196C
	v_mfma_i32_16x16x32_i8 v[144:147], a[110:111], a[14:15], v[144:147]// 0000000038DC: D3D70090 1E421D6E
	v_mfma_i32_16x16x32_i8 v[160:163], a[112:113], a[8:9], v[160:163]// 0000000038E4: D3D700A0 1E821170
	v_mfma_i32_16x16x32_i8 v[160:163], a[114:115], a[10:11], v[160:163]// 0000000038EC: D3D700A0 1E821572
	buffer_load_dwordx4 a[88:91], v57, s[84:87], 0 offen       // 0000000038F4: E05C1000 80955839
	v_mfma_i32_16x16x32_i8 v[160:163], a[116:117], a[12:13], v[160:163]// 0000000038FC: D3D700A0 1E821974
	v_mfma_i32_16x16x32_i8 v[160:163], a[118:119], a[14:15], v[160:163]// 000000003904: D3D700A0 1E821D76
	v_mfma_i32_16x16x32_i8 v[176:179], a[120:121], a[8:9], v[176:179]// 00000000390C: D3D700B0 1EC21178
	v_mfma_i32_16x16x32_i8 v[176:179], a[122:123], a[10:11], v[176:179]// 000000003914: D3D700B0 1EC2157A
	buffer_load_dwordx4 a[92:95], v57, s[84:87], 0 offen offset:1024// 00000000391C: E05C1400 80955C39
	v_mfma_i32_16x16x32_i8 v[176:179], a[124:125], a[12:13], v[176:179]// 000000003924: D3D700B0 1EC2197C
	v_mfma_i32_16x16x32_i8 v[176:179], a[126:127], a[14:15], v[176:179]// 00000000392C: D3D700B0 1EC21D7E
	v_mfma_i32_16x16x32_i8 v[132:135], a[96:97], a[16:17], v[132:135]// 000000003934: D3D70084 1E122160
	v_mfma_i32_16x16x32_i8 v[132:135], a[98:99], a[18:19], v[132:135]// 00000000393C: D3D70084 1E122562
	v_mfma_i32_16x16x32_i8 v[132:135], a[100:101], a[20:21], v[132:135]// 000000003944: D3D70084 1E122964
	v_mfma_i32_16x16x32_i8 v[132:135], a[102:103], a[22:23], v[132:135]// 00000000394C: D3D70084 1E122D66
	v_mfma_i32_16x16x32_i8 v[148:151], a[104:105], a[16:17], v[148:151]// 000000003954: D3D70094 1E522168
	v_mfma_i32_16x16x32_i8 v[148:151], a[106:107], a[18:19], v[148:151]// 00000000395C: D3D70094 1E52256A
	v_mfma_i32_16x16x32_i8 v[148:151], a[108:109], a[20:21], v[148:151]// 000000003964: D3D70094 1E52296C
	v_mfma_i32_16x16x32_i8 v[148:151], a[110:111], a[22:23], v[148:151]// 00000000396C: D3D70094 1E522D6E
	v_mfma_i32_16x16x32_i8 v[164:167], a[112:113], a[16:17], v[164:167]// 000000003974: D3D700A4 1E922170
	v_mfma_i32_16x16x32_i8 v[164:167], a[114:115], a[18:19], v[164:167]// 00000000397C: D3D700A4 1E922572
	v_mfma_i32_16x16x32_i8 v[164:167], a[116:117], a[20:21], v[164:167]// 000000003984: D3D700A4 1E922974
	v_mfma_i32_16x16x32_i8 v[164:167], a[118:119], a[22:23], v[164:167]// 00000000398C: D3D700A4 1E922D76
	v_mfma_i32_16x16x32_i8 v[180:183], a[120:121], a[16:17], v[180:183]// 000000003994: D3D700B4 1ED22178
	v_mfma_i32_16x16x32_i8 v[180:183], a[122:123], a[18:19], v[180:183]// 00000000399C: D3D700B4 1ED2257A
	v_mfma_i32_16x16x32_i8 v[180:183], a[124:125], a[20:21], v[180:183]// 0000000039A4: D3D700B4 1ED2297C
	v_mfma_i32_16x16x32_i8 v[180:183], a[126:127], a[22:23], v[180:183]// 0000000039AC: D3D700B4 1ED22D7E
	v_mfma_i32_16x16x32_i8 v[136:139], a[96:97], a[24:25], v[136:139]// 0000000039B4: D3D70088 1E223160
	v_mfma_i32_16x16x32_i8 v[136:139], a[98:99], a[26:27], v[136:139]// 0000000039BC: D3D70088 1E223562
	v_mfma_i32_16x16x32_i8 v[136:139], a[100:101], a[28:29], v[136:139]// 0000000039C4: D3D70088 1E223964
	v_mfma_i32_16x16x32_i8 v[136:139], a[102:103], a[30:31], v[136:139]// 0000000039CC: D3D70088 1E223D66
	v_mfma_i32_16x16x32_i8 v[152:155], a[104:105], a[24:25], v[152:155]// 0000000039D4: D3D70098 1E623168
	v_mfma_i32_16x16x32_i8 v[152:155], a[106:107], a[26:27], v[152:155]// 0000000039DC: D3D70098 1E62356A
	v_mfma_i32_16x16x32_i8 v[152:155], a[108:109], a[28:29], v[152:155]// 0000000039E4: D3D70098 1E62396C
	v_mfma_i32_16x16x32_i8 v[152:155], a[110:111], a[30:31], v[152:155]// 0000000039EC: D3D70098 1E623D6E
	v_mfma_i32_16x16x32_i8 v[168:171], a[112:113], a[24:25], v[168:171]// 0000000039F4: D3D700A8 1EA23170
	s_add_u32 s60, 0x180, s80                                  // 0000000039FC: 803C50FF 00000180
	s_cmp_lt_u32 s60, s81                                      // 000000003A04: BF0A513C
	s_cselect_b32 s57, s57, 0                                  // 000000003A08: 85398039
	v_mfma_i32_16x16x32_i8 v[168:171], a[114:115], a[26:27], v[168:171]// 000000003A0C: D3D700A8 1EA23572
	s_add_u32 s60, 0x100, s80                                  // 000000003A14: 803C50FF 00000100
	s_cmp_lt_u32 s60, s81                                      // 000000003A1C: BF0A513C
	s_cselect_b32 s58, s58, 0                                  // 000000003A20: 853A803A
	v_mfma_i32_16x16x32_i8 v[168:171], a[116:117], a[28:29], v[168:171]// 000000003A24: D3D700A8 1EA23974
	s_add_u32 s60, 0x100, s80                                  // 000000003A2C: 803C50FF 00000100
	s_cmp_lt_u32 s60, s81                                      // 000000003A34: BF0A513C
	s_cselect_b32 s83, s83, 0                                  // 000000003A38: 85538053
	v_mfma_i32_16x16x32_i8 v[168:171], a[118:119], a[30:31], v[168:171]// 000000003A3C: D3D700A8 1EA23D76
	s_add_u32 s24, s58, s24                                    // 000000003A44: 8018183A
	s_addc_u32 s25, 0, s25                                     // 000000003A48: 82191980
	v_mfma_i32_16x16x32_i8 v[184:187], a[120:121], a[24:25], v[184:187]// 000000003A4C: D3D700B8 1EE23178
	s_add_u32 s20, s57, s20                                    // 000000003A54: 80141439
	s_addc_u32 s21, 0, s21                                     // 000000003A58: 82151580
	v_mfma_i32_16x16x32_i8 v[184:187], a[122:123], a[26:27], v[184:187]// 000000003A5C: D3D700B8 1EE2357A
	s_add_u32 s84, s83, s84                                    // 000000003A64: 80545453
	s_addc_u32 s85, 0, s85                                     // 000000003A68: 82555580
	v_mfma_i32_16x16x32_i8 v[184:187], a[124:125], a[28:29], v[184:187]// 000000003A6C: D3D700B8 1EE2397C
	v_mfma_i32_16x16x32_i8 v[184:187], a[126:127], a[30:31], v[184:187]// 000000003A74: D3D700B8 1EE23D7E
	s_addk_i32 s80, 0x80                                       // 000000003A7C: B7500080
	s_cmp_lt_i32 s80, s81                                      // 000000003A80: BF045150
	s_cbranch_scc0 label_0B26                                  // 000000003A84: BF840704
	s_waitcnt vmcnt(16) lgkmcnt(0)                             // 000000003A88: BF8C4070
	v_mfma_i32_16x16x32_i8 v[60:63], a[128:129], a[32:33], v[60:63]// 000000003A8C: D3D7003C 1CF24180
	v_mfma_i32_16x16x32_i8 v[60:63], a[130:131], a[34:35], v[60:63]// 000000003A94: D3D7003C 1CF24582
	buffer_load_dwordx4 a[96:99], v54, s[24:27], 0 offen       // 000000003A9C: E05C1000 80866036
	v_mfma_i32_16x16x32_i8 v[60:63], a[132:133], a[36:37], v[60:63]// 000000003AA4: D3D7003C 1CF24984
	v_mfma_i32_16x16x32_i8 v[60:63], a[134:135], a[38:39], v[60:63]// 000000003AAC: D3D7003C 1CF24D86
	v_mfma_i32_16x16x32_i8 v[76:79], a[136:137], a[32:33], v[76:79]// 000000003AB4: D3D7004C 1D324188
	v_mfma_i32_16x16x32_i8 v[76:79], a[138:139], a[34:35], v[76:79]// 000000003ABC: D3D7004C 1D32458A
	buffer_load_dwordx4 a[100:103], v54, s[24:27], 0 offen offset:1024// 000000003AC4: E05C1400 80866436
	v_mfma_i32_16x16x32_i8 v[76:79], a[140:141], a[36:37], v[76:79]// 000000003ACC: D3D7004C 1D32498C
	v_mfma_i32_16x16x32_i8 v[76:79], a[142:143], a[38:39], v[76:79]// 000000003AD4: D3D7004C 1D324D8E
	v_mfma_i32_16x16x32_i8 v[92:95], a[144:145], a[32:33], v[92:95]// 000000003ADC: D3D7005C 1D724190
	v_mfma_i32_16x16x32_i8 v[92:95], a[146:147], a[34:35], v[92:95]// 000000003AE4: D3D7005C 1D724592
	buffer_load_dwordx4 a[104:107], v55, s[24:27], 0 offen     // 000000003AEC: E05C1000 80866837
	v_mfma_i32_16x16x32_i8 v[92:95], a[148:149], a[36:37], v[92:95]// 000000003AF4: D3D7005C 1D724994
	v_mfma_i32_16x16x32_i8 v[92:95], a[150:151], a[38:39], v[92:95]// 000000003AFC: D3D7005C 1D724D96
	v_mfma_i32_16x16x32_i8 v[108:111], a[152:153], a[32:33], v[108:111]// 000000003B04: D3D7006C 1DB24198
	v_mfma_i32_16x16x32_i8 v[108:111], a[154:155], a[34:35], v[108:111]// 000000003B0C: D3D7006C 1DB2459A
	buffer_load_dwordx4 a[108:111], v55, s[24:27], 0 offen offset:1024// 000000003B14: E05C1400 80866C37
	v_mfma_i32_16x16x32_i8 v[108:111], a[156:157], a[36:37], v[108:111]// 000000003B1C: D3D7006C 1DB2499C
	v_mfma_i32_16x16x32_i8 v[108:111], a[158:159], a[38:39], v[108:111]// 000000003B24: D3D7006C 1DB24D9E
	v_mfma_i32_16x16x32_i8 v[64:67], a[128:129], a[40:41], v[64:67]// 000000003B2C: D3D70040 1D025180
	v_mfma_i32_16x16x32_i8 v[64:67], a[130:131], a[42:43], v[64:67]// 000000003B34: D3D70040 1D025582
	buffer_load_dwordx4 a[112:115], v56, s[24:27], 0 offen     // 000000003B3C: E05C1000 80867038
	v_mfma_i32_16x16x32_i8 v[64:67], a[132:133], a[44:45], v[64:67]// 000000003B44: D3D70040 1D025984
	v_mfma_i32_16x16x32_i8 v[64:67], a[134:135], a[46:47], v[64:67]// 000000003B4C: D3D70040 1D025D86
	v_mfma_i32_16x16x32_i8 v[80:83], a[136:137], a[40:41], v[80:83]// 000000003B54: D3D70050 1D425188
	v_mfma_i32_16x16x32_i8 v[80:83], a[138:139], a[42:43], v[80:83]// 000000003B5C: D3D70050 1D42558A
	buffer_load_dwordx4 a[116:119], v56, s[24:27], 0 offen offset:1024// 000000003B64: E05C1400 80867438
	v_mfma_i32_16x16x32_i8 v[80:83], a[140:141], a[44:45], v[80:83]// 000000003B6C: D3D70050 1D42598C
	v_mfma_i32_16x16x32_i8 v[80:83], a[142:143], a[46:47], v[80:83]// 000000003B74: D3D70050 1D425D8E
	v_mfma_i32_16x16x32_i8 v[96:99], a[144:145], a[40:41], v[96:99]// 000000003B7C: D3D70060 1D825190
	v_mfma_i32_16x16x32_i8 v[96:99], a[146:147], a[42:43], v[96:99]// 000000003B84: D3D70060 1D825592
	buffer_load_dwordx4 a[120:123], v57, s[24:27], 0 offen     // 000000003B8C: E05C1000 80867839
	v_mfma_i32_16x16x32_i8 v[96:99], a[148:149], a[44:45], v[96:99]// 000000003B94: D3D70060 1D825994
	v_mfma_i32_16x16x32_i8 v[96:99], a[150:151], a[46:47], v[96:99]// 000000003B9C: D3D70060 1D825D96
	v_mfma_i32_16x16x32_i8 v[112:115], a[152:153], a[40:41], v[112:115]// 000000003BA4: D3D70070 1DC25198
	v_mfma_i32_16x16x32_i8 v[112:115], a[154:155], a[42:43], v[112:115]// 000000003BAC: D3D70070 1DC2559A
	buffer_load_dwordx4 a[124:127], v57, s[24:27], 0 offen offset:1024// 000000003BB4: E05C1400 80867C39
	buffer_load_dword v46, s[20:23], 0 offen lds               // 000000003BBC: E0511000 8005002E
	s_add_u32 m0, 0x100, s48                                   // 000000003BC4: 807C30FF 00000100
	v_mfma_i32_16x16x32_i8 v[112:115], a[156:157], a[44:45], v[112:115]// 000000003BCC: D3D70070 1DC2599C
	v_mfma_i32_16x16x32_i8 v[112:115], a[158:159], a[46:47], v[112:115]// 000000003BD4: D3D70070 1DC25D9E
	buffer_load_dword v47, s[20:23], 0 offen lds               // 000000003BDC: E0511000 8005002F
	s_add_u32 m0, 0x200, s48                                   // 000000003BE4: 807C30FF 00000200
	v_mfma_i32_16x16x32_i8 v[68:71], a[128:129], a[48:49], v[68:71]// 000000003BEC: D3D70044 1D126180
	v_mfma_i32_16x16x32_i8 v[68:71], a[130:131], a[50:51], v[68:71]// 000000003BF4: D3D70044 1D126582
	buffer_load_dword v48, s[20:23], 0 offen lds               // 000000003BFC: E0511000 80050030
	s_add_u32 m0, 0x300, s48                                   // 000000003C04: 807C30FF 00000300
	v_mfma_i32_16x16x32_i8 v[68:71], a[132:133], a[52:53], v[68:71]// 000000003C0C: D3D70044 1D126984
	v_mfma_i32_16x16x32_i8 v[68:71], a[134:135], a[54:55], v[68:71]// 000000003C14: D3D70044 1D126D86
	buffer_load_dword v49, s[20:23], 0 offen lds               // 000000003C1C: E0511000 80050031
	s_add_u32 m0, 0x400, s48                                   // 000000003C24: 807C30FF 00000400
	v_mfma_i32_16x16x32_i8 v[84:87], a[136:137], a[48:49], v[84:87]// 000000003C2C: D3D70054 1D526188
	v_mfma_i32_16x16x32_i8 v[84:87], a[138:139], a[50:51], v[84:87]// 000000003C34: D3D70054 1D52658A
	buffer_load_dword v50, s[20:23], 0 offen lds               // 000000003C3C: E0511000 80050032
	s_add_u32 m0, 0x500, s48                                   // 000000003C44: 807C30FF 00000500
	v_mfma_i32_16x16x32_i8 v[84:87], a[140:141], a[52:53], v[84:87]// 000000003C4C: D3D70054 1D52698C
	v_mfma_i32_16x16x32_i8 v[84:87], a[142:143], a[54:55], v[84:87]// 000000003C54: D3D70054 1D526D8E
	buffer_load_dword v51, s[20:23], 0 offen lds               // 000000003C5C: E0511000 80050033
	s_add_u32 m0, 0x600, s48                                   // 000000003C64: 807C30FF 00000600
	v_mfma_i32_16x16x32_i8 v[100:103], a[144:145], a[48:49], v[100:103]// 000000003C6C: D3D70064 1D926190
	v_mfma_i32_16x16x32_i8 v[100:103], a[146:147], a[50:51], v[100:103]// 000000003C74: D3D70064 1D926592
	buffer_load_dword v52, s[20:23], 0 offen lds               // 000000003C7C: E0511000 80050034
	s_add_u32 m0, 0x700, s48                                   // 000000003C84: 807C30FF 00000700
	v_mfma_i32_16x16x32_i8 v[100:103], a[148:149], a[52:53], v[100:103]// 000000003C8C: D3D70064 1D926994
	v_mfma_i32_16x16x32_i8 v[100:103], a[150:151], a[54:55], v[100:103]// 000000003C94: D3D70064 1D926D96
	buffer_load_dword v53, s[20:23], 0 offen lds               // 000000003C9C: E0511000 80050035
	s_add_u32 m0, 0, s49                                       // 000000003CA4: 807C3180
	v_mfma_i32_16x16x32_i8 v[116:119], a[152:153], a[48:49], v[116:119]// 000000003CA8: D3D70074 1DD26198
	v_mfma_i32_16x16x32_i8 v[116:119], a[154:155], a[50:51], v[116:119]// 000000003CB0: D3D70074 1DD2659A
	v_mfma_i32_16x16x32_i8 v[116:119], a[156:157], a[52:53], v[116:119]// 000000003CB8: D3D70074 1DD2699C
	v_mfma_i32_16x16x32_i8 v[116:119], a[158:159], a[54:55], v[116:119]// 000000003CC0: D3D70074 1DD26D9E
	v_mfma_i32_16x16x32_i8 v[72:75], a[128:129], a[56:57], v[72:75]// 000000003CC8: D3D70048 1D227180
	v_mfma_i32_16x16x32_i8 v[72:75], a[130:131], a[58:59], v[72:75]// 000000003CD0: D3D70048 1D227582
	v_mfma_i32_16x16x32_i8 v[72:75], a[132:133], a[60:61], v[72:75]// 000000003CD8: D3D70048 1D227984
	v_mfma_i32_16x16x32_i8 v[72:75], a[134:135], a[62:63], v[72:75]// 000000003CE0: D3D70048 1D227D86
	v_mfma_i32_16x16x32_i8 v[88:91], a[136:137], a[56:57], v[88:91]// 000000003CE8: D3D70058 1D627188
	v_mfma_i32_16x16x32_i8 v[88:91], a[138:139], a[58:59], v[88:91]// 000000003CF0: D3D70058 1D62758A
	v_mfma_i32_16x16x32_i8 v[88:91], a[140:141], a[60:61], v[88:91]// 000000003CF8: D3D70058 1D62798C
	v_mfma_i32_16x16x32_i8 v[88:91], a[142:143], a[62:63], v[88:91]// 000000003D00: D3D70058 1D627D8E
	v_mfma_i32_16x16x32_i8 v[104:107], a[144:145], a[56:57], v[104:107]// 000000003D08: D3D70068 1DA27190
	v_mfma_i32_16x16x32_i8 v[104:107], a[146:147], a[58:59], v[104:107]// 000000003D10: D3D70068 1DA27592
	v_mfma_i32_16x16x32_i8 v[104:107], a[148:149], a[60:61], v[104:107]// 000000003D18: D3D70068 1DA27994
	v_mfma_i32_16x16x32_i8 v[104:107], a[150:151], a[62:63], v[104:107]// 000000003D20: D3D70068 1DA27D96
	v_mfma_i32_16x16x32_i8 v[120:123], a[152:153], a[56:57], v[120:123]// 000000003D28: D3D70078 1DE27198
	v_mfma_i32_16x16x32_i8 v[120:123], a[154:155], a[58:59], v[120:123]// 000000003D30: D3D70078 1DE2759A
	v_mfma_i32_16x16x32_i8 v[120:123], a[156:157], a[60:61], v[120:123]// 000000003D38: D3D70078 1DE2799C
	v_mfma_i32_16x16x32_i8 v[120:123], a[158:159], a[62:63], v[120:123]// 000000003D40: D3D70078 1DE27D9E
	s_waitcnt vmcnt(16)                                        // 000000003D48: BF8C4F70
	s_barrier                                                  // 000000003D4C: BF8A0000
	v_mfma_i32_16x16x32_i8 v[124:127], a[64:65], a[32:33], v[124:127]// 000000003D50: D3D7007C 1DF24140
	v_mfma_i32_16x16x32_i8 v[124:127], a[66:67], a[34:35], v[124:127]// 000000003D58: D3D7007C 1DF24542
	buffer_load_dwordx4 a[128:131], v54, s[84:87], 0 offen     // 000000003D60: E05C1000 80958036
	v_mfma_i32_16x16x32_i8 v[124:127], a[68:69], a[36:37], v[124:127]// 000000003D68: D3D7007C 1DF24944
	v_mfma_i32_16x16x32_i8 v[124:127], a[70:71], a[38:39], v[124:127]// 000000003D70: D3D7007C 1DF24D46
	ds_read_b128 a[0:3], v2 offset:16640                       // 000000003D78: DBFE4100 00000002
	ds_read_b128 a[4:7], v2 offset:16704                       // 000000003D80: DBFE4140 04000002
	v_mfma_i32_16x16x32_i8 v[140:143], a[72:73], a[32:33], v[140:143]// 000000003D88: D3D7008C 1E324148
	v_mfma_i32_16x16x32_i8 v[140:143], a[74:75], a[34:35], v[140:143]// 000000003D90: D3D7008C 1E32454A
	buffer_load_dwordx4 a[132:135], v54, s[84:87], 0 offen offset:1024// 000000003D98: E05C1400 80958436
	v_mfma_i32_16x16x32_i8 v[140:143], a[76:77], a[36:37], v[140:143]// 000000003DA0: D3D7008C 1E32494C
	v_mfma_i32_16x16x32_i8 v[140:143], a[78:79], a[38:39], v[140:143]// 000000003DA8: D3D7008C 1E324D4E
	ds_read_b128 a[8:11], v2 offset:17152                      // 000000003DB0: DBFE4300 08000002
	ds_read_b128 a[12:15], v2 offset:17216                     // 000000003DB8: DBFE4340 0C000002
	v_mfma_i32_16x16x32_i8 v[156:159], a[80:81], a[32:33], v[156:159]// 000000003DC0: D3D7009C 1E724150
	v_mfma_i32_16x16x32_i8 v[156:159], a[82:83], a[34:35], v[156:159]// 000000003DC8: D3D7009C 1E724552
	buffer_load_dwordx4 a[136:139], v55, s[84:87], 0 offen     // 000000003DD0: E05C1000 80958837
	v_mfma_i32_16x16x32_i8 v[156:159], a[84:85], a[36:37], v[156:159]// 000000003DD8: D3D7009C 1E724954
	v_mfma_i32_16x16x32_i8 v[156:159], a[86:87], a[38:39], v[156:159]// 000000003DE0: D3D7009C 1E724D56
	ds_read_b128 a[16:19], v2 offset:17664                     // 000000003DE8: DBFE4500 10000002
	ds_read_b128 a[20:23], v2 offset:17728                     // 000000003DF0: DBFE4540 14000002
	v_mfma_i32_16x16x32_i8 v[172:175], a[88:89], a[32:33], v[172:175]// 000000003DF8: D3D700AC 1EB24158
	v_mfma_i32_16x16x32_i8 v[172:175], a[90:91], a[34:35], v[172:175]// 000000003E00: D3D700AC 1EB2455A
	buffer_load_dwordx4 a[140:143], v55, s[84:87], 0 offen offset:1024// 000000003E08: E05C1400 80958C37
	v_mfma_i32_16x16x32_i8 v[172:175], a[92:93], a[36:37], v[172:175]// 000000003E10: D3D700AC 1EB2495C
	v_mfma_i32_16x16x32_i8 v[172:175], a[94:95], a[38:39], v[172:175]// 000000003E18: D3D700AC 1EB24D5E
	ds_read_b128 a[24:27], v2 offset:18176                     // 000000003E20: DBFE4700 18000002
	ds_read_b128 a[28:31], v2 offset:18240                     // 000000003E28: DBFE4740 1C000002
	v_mfma_i32_16x16x32_i8 v[128:131], a[64:65], a[40:41], v[128:131]// 000000003E30: D3D70080 1E025140
	v_mfma_i32_16x16x32_i8 v[128:131], a[66:67], a[42:43], v[128:131]// 000000003E38: D3D70080 1E025542
	buffer_load_dwordx4 a[144:147], v56, s[84:87], 0 offen     // 000000003E40: E05C1000 80959038
	v_mfma_i32_16x16x32_i8 v[128:131], a[68:69], a[44:45], v[128:131]// 000000003E48: D3D70080 1E025944
	v_mfma_i32_16x16x32_i8 v[128:131], a[70:71], a[46:47], v[128:131]// 000000003E50: D3D70080 1E025D46
	v_mfma_i32_16x16x32_i8 v[144:147], a[72:73], a[40:41], v[144:147]// 000000003E58: D3D70090 1E425148
	v_mfma_i32_16x16x32_i8 v[144:147], a[74:75], a[42:43], v[144:147]// 000000003E60: D3D70090 1E42554A
	buffer_load_dwordx4 a[148:151], v56, s[84:87], 0 offen offset:1024// 000000003E68: E05C1400 80959438
	v_mfma_i32_16x16x32_i8 v[144:147], a[76:77], a[44:45], v[144:147]// 000000003E70: D3D70090 1E42594C
	v_mfma_i32_16x16x32_i8 v[144:147], a[78:79], a[46:47], v[144:147]// 000000003E78: D3D70090 1E425D4E
	v_mfma_i32_16x16x32_i8 v[160:163], a[80:81], a[40:41], v[160:163]// 000000003E80: D3D700A0 1E825150
	v_mfma_i32_16x16x32_i8 v[160:163], a[82:83], a[42:43], v[160:163]// 000000003E88: D3D700A0 1E825552
	buffer_load_dwordx4 a[152:155], v57, s[84:87], 0 offen     // 000000003E90: E05C1000 80959839
	v_mfma_i32_16x16x32_i8 v[160:163], a[84:85], a[44:45], v[160:163]// 000000003E98: D3D700A0 1E825954
	v_mfma_i32_16x16x32_i8 v[160:163], a[86:87], a[46:47], v[160:163]// 000000003EA0: D3D700A0 1E825D56
	v_mfma_i32_16x16x32_i8 v[176:179], a[88:89], a[40:41], v[176:179]// 000000003EA8: D3D700B0 1EC25158
	v_mfma_i32_16x16x32_i8 v[176:179], a[90:91], a[42:43], v[176:179]// 000000003EB0: D3D700B0 1EC2555A
	buffer_load_dwordx4 a[156:159], v57, s[84:87], 0 offen offset:1024// 000000003EB8: E05C1400 80959C39
	v_mfma_i32_16x16x32_i8 v[176:179], a[92:93], a[44:45], v[176:179]// 000000003EC0: D3D700B0 1EC2595C
	v_mfma_i32_16x16x32_i8 v[176:179], a[94:95], a[46:47], v[176:179]// 000000003EC8: D3D700B0 1EC25D5E
	v_mfma_i32_16x16x32_i8 v[132:135], a[64:65], a[48:49], v[132:135]// 000000003ED0: D3D70084 1E126140
	v_mfma_i32_16x16x32_i8 v[132:135], a[66:67], a[50:51], v[132:135]// 000000003ED8: D3D70084 1E126542
	v_mfma_i32_16x16x32_i8 v[132:135], a[68:69], a[52:53], v[132:135]// 000000003EE0: D3D70084 1E126944
	v_mfma_i32_16x16x32_i8 v[132:135], a[70:71], a[54:55], v[132:135]// 000000003EE8: D3D70084 1E126D46
	v_mfma_i32_16x16x32_i8 v[148:151], a[72:73], a[48:49], v[148:151]// 000000003EF0: D3D70094 1E526148
	v_mfma_i32_16x16x32_i8 v[148:151], a[74:75], a[50:51], v[148:151]// 000000003EF8: D3D70094 1E52654A
	v_mfma_i32_16x16x32_i8 v[148:151], a[76:77], a[52:53], v[148:151]// 000000003F00: D3D70094 1E52694C
	v_mfma_i32_16x16x32_i8 v[148:151], a[78:79], a[54:55], v[148:151]// 000000003F08: D3D70094 1E526D4E
	v_mfma_i32_16x16x32_i8 v[164:167], a[80:81], a[48:49], v[164:167]// 000000003F10: D3D700A4 1E926150
	v_mfma_i32_16x16x32_i8 v[164:167], a[82:83], a[50:51], v[164:167]// 000000003F18: D3D700A4 1E926552
	v_mfma_i32_16x16x32_i8 v[164:167], a[84:85], a[52:53], v[164:167]// 000000003F20: D3D700A4 1E926954
	v_mfma_i32_16x16x32_i8 v[164:167], a[86:87], a[54:55], v[164:167]// 000000003F28: D3D700A4 1E926D56
	v_mfma_i32_16x16x32_i8 v[180:183], a[88:89], a[48:49], v[180:183]// 000000003F30: D3D700B4 1ED26158
	v_mfma_i32_16x16x32_i8 v[180:183], a[90:91], a[50:51], v[180:183]// 000000003F38: D3D700B4 1ED2655A
	v_mfma_i32_16x16x32_i8 v[180:183], a[92:93], a[52:53], v[180:183]// 000000003F40: D3D700B4 1ED2695C
	v_mfma_i32_16x16x32_i8 v[180:183], a[94:95], a[54:55], v[180:183]// 000000003F48: D3D700B4 1ED26D5E
	v_mfma_i32_16x16x32_i8 v[136:139], a[64:65], a[56:57], v[136:139]// 000000003F50: D3D70088 1E227140
	v_mfma_i32_16x16x32_i8 v[136:139], a[66:67], a[58:59], v[136:139]// 000000003F58: D3D70088 1E227542
	v_mfma_i32_16x16x32_i8 v[136:139], a[68:69], a[60:61], v[136:139]// 000000003F60: D3D70088 1E227944
	v_mfma_i32_16x16x32_i8 v[136:139], a[70:71], a[62:63], v[136:139]// 000000003F68: D3D70088 1E227D46
	v_mfma_i32_16x16x32_i8 v[152:155], a[72:73], a[56:57], v[152:155]// 000000003F70: D3D70098 1E627148
	v_mfma_i32_16x16x32_i8 v[152:155], a[74:75], a[58:59], v[152:155]// 000000003F78: D3D70098 1E62754A
	v_mfma_i32_16x16x32_i8 v[152:155], a[76:77], a[60:61], v[152:155]// 000000003F80: D3D70098 1E62794C
	v_mfma_i32_16x16x32_i8 v[152:155], a[78:79], a[62:63], v[152:155]// 000000003F88: D3D70098 1E627D4E
	v_mfma_i32_16x16x32_i8 v[168:171], a[80:81], a[56:57], v[168:171]// 000000003F90: D3D700A8 1EA27150
	s_add_u32 s60, 0x180, s80                                  // 000000003F98: 803C50FF 00000180
	s_cmp_lt_u32 s60, s81                                      // 000000003FA0: BF0A513C
	s_cselect_b32 s57, s57, 0                                  // 000000003FA4: 85398039
	v_mfma_i32_16x16x32_i8 v[168:171], a[82:83], a[58:59], v[168:171]// 000000003FA8: D3D700A8 1EA27552
	s_add_u32 s60, 0x100, s80                                  // 000000003FB0: 803C50FF 00000100
	s_cmp_lt_u32 s60, s81                                      // 000000003FB8: BF0A513C
	s_cselect_b32 s58, s58, 0                                  // 000000003FBC: 853A803A
	v_mfma_i32_16x16x32_i8 v[168:171], a[84:85], a[60:61], v[168:171]// 000000003FC0: D3D700A8 1EA27954
	s_add_u32 s60, 0x100, s80                                  // 000000003FC8: 803C50FF 00000100
	s_cmp_lt_u32 s60, s81                                      // 000000003FD0: BF0A513C
	s_cselect_b32 s83, s83, 0                                  // 000000003FD4: 85538053
	v_mfma_i32_16x16x32_i8 v[168:171], a[86:87], a[62:63], v[168:171]// 000000003FD8: D3D700A8 1EA27D56
	s_add_u32 s24, s58, s24                                    // 000000003FE0: 8018183A
	s_addc_u32 s25, 0, s25                                     // 000000003FE4: 82191980
	v_mfma_i32_16x16x32_i8 v[184:187], a[88:89], a[56:57], v[184:187]// 000000003FE8: D3D700B8 1EE27158
	s_add_u32 s20, s57, s20                                    // 000000003FF0: 80141439
	s_addc_u32 s21, 0, s21                                     // 000000003FF4: 82151580
	v_mfma_i32_16x16x32_i8 v[184:187], a[90:91], a[58:59], v[184:187]// 000000003FF8: D3D700B8 1EE2755A
	s_add_u32 s84, s83, s84                                    // 000000004000: 80545453
	s_addc_u32 s85, 0, s85                                     // 000000004004: 82555580
	v_mfma_i32_16x16x32_i8 v[184:187], a[92:93], a[60:61], v[184:187]// 000000004008: D3D700B8 1EE2795C
	v_mfma_i32_16x16x32_i8 v[184:187], a[94:95], a[62:63], v[184:187]// 000000004010: D3D700B8 1EE27D5E
	s_addk_i32 s80, 0x80                                       // 000000004018: B7500080
	s_cmp_lt_i32 s80, s81                                      // 00000000401C: BF045150
	s_cbranch_scc0 label_0B26                                  // 000000004020: BF84059D
	s_waitcnt vmcnt(16) lgkmcnt(0)                             // 000000004024: BF8C4070
	v_mfma_i32_16x16x32_i8 v[60:63], a[96:97], a[0:1], v[60:63]// 000000004028: D3D7003C 1CF20160
	v_mfma_i32_16x16x32_i8 v[60:63], a[98:99], a[2:3], v[60:63]// 000000004030: D3D7003C 1CF20562
	buffer_load_dwordx4 a[64:67], v54, s[24:27], 0 offen       // 000000004038: E05C1000 80864036
	v_mfma_i32_16x16x32_i8 v[60:63], a[100:101], a[4:5], v[60:63]// 000000004040: D3D7003C 1CF20964
	v_mfma_i32_16x16x32_i8 v[60:63], a[102:103], a[6:7], v[60:63]// 000000004048: D3D7003C 1CF20D66
	v_mfma_i32_16x16x32_i8 v[76:79], a[104:105], a[0:1], v[76:79]// 000000004050: D3D7004C 1D320168
	v_mfma_i32_16x16x32_i8 v[76:79], a[106:107], a[2:3], v[76:79]// 000000004058: D3D7004C 1D32056A
	buffer_load_dwordx4 a[68:71], v54, s[24:27], 0 offen offset:1024// 000000004060: E05C1400 80864436
	v_mfma_i32_16x16x32_i8 v[76:79], a[108:109], a[4:5], v[76:79]// 000000004068: D3D7004C 1D32096C
	v_mfma_i32_16x16x32_i8 v[76:79], a[110:111], a[6:7], v[76:79]// 000000004070: D3D7004C 1D320D6E
	v_mfma_i32_16x16x32_i8 v[92:95], a[112:113], a[0:1], v[92:95]// 000000004078: D3D7005C 1D720170
	v_mfma_i32_16x16x32_i8 v[92:95], a[114:115], a[2:3], v[92:95]// 000000004080: D3D7005C 1D720572
	buffer_load_dwordx4 a[72:75], v55, s[24:27], 0 offen       // 000000004088: E05C1000 80864837
	v_mfma_i32_16x16x32_i8 v[92:95], a[116:117], a[4:5], v[92:95]// 000000004090: D3D7005C 1D720974
	v_mfma_i32_16x16x32_i8 v[92:95], a[118:119], a[6:7], v[92:95]// 000000004098: D3D7005C 1D720D76
	v_mfma_i32_16x16x32_i8 v[108:111], a[120:121], a[0:1], v[108:111]// 0000000040A0: D3D7006C 1DB20178
	v_mfma_i32_16x16x32_i8 v[108:111], a[122:123], a[2:3], v[108:111]// 0000000040A8: D3D7006C 1DB2057A
	buffer_load_dwordx4 a[76:79], v55, s[24:27], 0 offen offset:1024// 0000000040B0: E05C1400 80864C37
	v_mfma_i32_16x16x32_i8 v[108:111], a[124:125], a[4:5], v[108:111]// 0000000040B8: D3D7006C 1DB2097C
	v_mfma_i32_16x16x32_i8 v[108:111], a[126:127], a[6:7], v[108:111]// 0000000040C0: D3D7006C 1DB20D7E
	v_mfma_i32_16x16x32_i8 v[64:67], a[96:97], a[8:9], v[64:67]// 0000000040C8: D3D70040 1D021160
	v_mfma_i32_16x16x32_i8 v[64:67], a[98:99], a[10:11], v[64:67]// 0000000040D0: D3D70040 1D021562
	buffer_load_dwordx4 a[80:83], v56, s[24:27], 0 offen       // 0000000040D8: E05C1000 80865038
	v_mfma_i32_16x16x32_i8 v[64:67], a[100:101], a[12:13], v[64:67]// 0000000040E0: D3D70040 1D021964
	v_mfma_i32_16x16x32_i8 v[64:67], a[102:103], a[14:15], v[64:67]// 0000000040E8: D3D70040 1D021D66
	v_mfma_i32_16x16x32_i8 v[80:83], a[104:105], a[8:9], v[80:83]// 0000000040F0: D3D70050 1D421168
	v_mfma_i32_16x16x32_i8 v[80:83], a[106:107], a[10:11], v[80:83]// 0000000040F8: D3D70050 1D42156A
	buffer_load_dwordx4 a[84:87], v56, s[24:27], 0 offen offset:1024// 000000004100: E05C1400 80865438
	v_mfma_i32_16x16x32_i8 v[80:83], a[108:109], a[12:13], v[80:83]// 000000004108: D3D70050 1D42196C
	v_mfma_i32_16x16x32_i8 v[80:83], a[110:111], a[14:15], v[80:83]// 000000004110: D3D70050 1D421D6E
	v_mfma_i32_16x16x32_i8 v[96:99], a[112:113], a[8:9], v[96:99]// 000000004118: D3D70060 1D821170
	v_mfma_i32_16x16x32_i8 v[96:99], a[114:115], a[10:11], v[96:99]// 000000004120: D3D70060 1D821572
	buffer_load_dwordx4 a[88:91], v57, s[24:27], 0 offen       // 000000004128: E05C1000 80865839
	v_mfma_i32_16x16x32_i8 v[96:99], a[116:117], a[12:13], v[96:99]// 000000004130: D3D70060 1D821974
	v_mfma_i32_16x16x32_i8 v[96:99], a[118:119], a[14:15], v[96:99]// 000000004138: D3D70060 1D821D76
	v_mfma_i32_16x16x32_i8 v[112:115], a[120:121], a[8:9], v[112:115]// 000000004140: D3D70070 1DC21178
	v_mfma_i32_16x16x32_i8 v[112:115], a[122:123], a[10:11], v[112:115]// 000000004148: D3D70070 1DC2157A
	buffer_load_dwordx4 a[92:95], v57, s[24:27], 0 offen offset:1024// 000000004150: E05C1400 80865C39
	buffer_load_dword v46, s[20:23], 0 offen lds               // 000000004158: E0511000 8005002E
	s_add_u32 m0, 0x100, s49                                   // 000000004160: 807C31FF 00000100
	v_mfma_i32_16x16x32_i8 v[112:115], a[124:125], a[12:13], v[112:115]// 000000004168: D3D70070 1DC2197C
	v_mfma_i32_16x16x32_i8 v[112:115], a[126:127], a[14:15], v[112:115]// 000000004170: D3D70070 1DC21D7E
	buffer_load_dword v47, s[20:23], 0 offen lds               // 000000004178: E0511000 8005002F
	s_add_u32 m0, 0x200, s49                                   // 000000004180: 807C31FF 00000200
	v_mfma_i32_16x16x32_i8 v[68:71], a[96:97], a[16:17], v[68:71]// 000000004188: D3D70044 1D122160
	v_mfma_i32_16x16x32_i8 v[68:71], a[98:99], a[18:19], v[68:71]// 000000004190: D3D70044 1D122562
	buffer_load_dword v48, s[20:23], 0 offen lds               // 000000004198: E0511000 80050030
	s_add_u32 m0, 0x300, s49                                   // 0000000041A0: 807C31FF 00000300
	v_mfma_i32_16x16x32_i8 v[68:71], a[100:101], a[20:21], v[68:71]// 0000000041A8: D3D70044 1D122964
	v_mfma_i32_16x16x32_i8 v[68:71], a[102:103], a[22:23], v[68:71]// 0000000041B0: D3D70044 1D122D66
	buffer_load_dword v49, s[20:23], 0 offen lds               // 0000000041B8: E0511000 80050031
	s_add_u32 m0, 0x400, s49                                   // 0000000041C0: 807C31FF 00000400
	v_mfma_i32_16x16x32_i8 v[84:87], a[104:105], a[16:17], v[84:87]// 0000000041C8: D3D70054 1D522168
	v_mfma_i32_16x16x32_i8 v[84:87], a[106:107], a[18:19], v[84:87]// 0000000041D0: D3D70054 1D52256A
	buffer_load_dword v50, s[20:23], 0 offen lds               // 0000000041D8: E0511000 80050032
	s_add_u32 m0, 0x500, s49                                   // 0000000041E0: 807C31FF 00000500
	v_mfma_i32_16x16x32_i8 v[84:87], a[108:109], a[20:21], v[84:87]// 0000000041E8: D3D70054 1D52296C
	v_mfma_i32_16x16x32_i8 v[84:87], a[110:111], a[22:23], v[84:87]// 0000000041F0: D3D70054 1D522D6E
	buffer_load_dword v51, s[20:23], 0 offen lds               // 0000000041F8: E0511000 80050033
	s_add_u32 m0, 0x600, s49                                   // 000000004200: 807C31FF 00000600
	v_mfma_i32_16x16x32_i8 v[100:103], a[112:113], a[16:17], v[100:103]// 000000004208: D3D70064 1D922170
	v_mfma_i32_16x16x32_i8 v[100:103], a[114:115], a[18:19], v[100:103]// 000000004210: D3D70064 1D922572
	buffer_load_dword v52, s[20:23], 0 offen lds               // 000000004218: E0511000 80050034
	s_add_u32 m0, 0x700, s49                                   // 000000004220: 807C31FF 00000700
	v_mfma_i32_16x16x32_i8 v[100:103], a[116:117], a[20:21], v[100:103]// 000000004228: D3D70064 1D922974
	v_mfma_i32_16x16x32_i8 v[100:103], a[118:119], a[22:23], v[100:103]// 000000004230: D3D70064 1D922D76
	buffer_load_dword v53, s[20:23], 0 offen lds               // 000000004238: E0511000 80050035
	s_add_u32 m0, 0, s50                                       // 000000004240: 807C3280
	v_mfma_i32_16x16x32_i8 v[116:119], a[120:121], a[16:17], v[116:119]// 000000004244: D3D70074 1DD22178
	v_mfma_i32_16x16x32_i8 v[116:119], a[122:123], a[18:19], v[116:119]// 00000000424C: D3D70074 1DD2257A
	v_mfma_i32_16x16x32_i8 v[116:119], a[124:125], a[20:21], v[116:119]// 000000004254: D3D70074 1DD2297C
	v_mfma_i32_16x16x32_i8 v[116:119], a[126:127], a[22:23], v[116:119]// 00000000425C: D3D70074 1DD22D7E
	v_mfma_i32_16x16x32_i8 v[72:75], a[96:97], a[24:25], v[72:75]// 000000004264: D3D70048 1D223160
	v_mfma_i32_16x16x32_i8 v[72:75], a[98:99], a[26:27], v[72:75]// 00000000426C: D3D70048 1D223562
	v_mfma_i32_16x16x32_i8 v[72:75], a[100:101], a[28:29], v[72:75]// 000000004274: D3D70048 1D223964
	v_mfma_i32_16x16x32_i8 v[72:75], a[102:103], a[30:31], v[72:75]// 00000000427C: D3D70048 1D223D66
	v_mfma_i32_16x16x32_i8 v[88:91], a[104:105], a[24:25], v[88:91]// 000000004284: D3D70058 1D623168
	v_mfma_i32_16x16x32_i8 v[88:91], a[106:107], a[26:27], v[88:91]// 00000000428C: D3D70058 1D62356A
	v_mfma_i32_16x16x32_i8 v[88:91], a[108:109], a[28:29], v[88:91]// 000000004294: D3D70058 1D62396C
	v_mfma_i32_16x16x32_i8 v[88:91], a[110:111], a[30:31], v[88:91]// 00000000429C: D3D70058 1D623D6E
	v_mfma_i32_16x16x32_i8 v[104:107], a[112:113], a[24:25], v[104:107]// 0000000042A4: D3D70068 1DA23170
	v_mfma_i32_16x16x32_i8 v[104:107], a[114:115], a[26:27], v[104:107]// 0000000042AC: D3D70068 1DA23572
	v_mfma_i32_16x16x32_i8 v[104:107], a[116:117], a[28:29], v[104:107]// 0000000042B4: D3D70068 1DA23974
	v_mfma_i32_16x16x32_i8 v[104:107], a[118:119], a[30:31], v[104:107]// 0000000042BC: D3D70068 1DA23D76
	v_mfma_i32_16x16x32_i8 v[120:123], a[120:121], a[24:25], v[120:123]// 0000000042C4: D3D70078 1DE23178
	v_mfma_i32_16x16x32_i8 v[120:123], a[122:123], a[26:27], v[120:123]// 0000000042CC: D3D70078 1DE2357A
	v_mfma_i32_16x16x32_i8 v[120:123], a[124:125], a[28:29], v[120:123]// 0000000042D4: D3D70078 1DE2397C
	v_mfma_i32_16x16x32_i8 v[120:123], a[126:127], a[30:31], v[120:123]// 0000000042DC: D3D70078 1DE23D7E
	s_waitcnt vmcnt(16)                                        // 0000000042E4: BF8C4F70
	s_barrier                                                  // 0000000042E8: BF8A0000
	v_mfma_i32_16x16x32_i8 v[124:127], a[128:129], a[0:1], v[124:127]// 0000000042EC: D3D7007C 1DF20180
	v_mfma_i32_16x16x32_i8 v[124:127], a[130:131], a[2:3], v[124:127]// 0000000042F4: D3D7007C 1DF20582
	buffer_load_dwordx4 a[96:99], v54, s[84:87], 0 offen       // 0000000042FC: E05C1000 80956036
	v_mfma_i32_16x16x32_i8 v[124:127], a[132:133], a[4:5], v[124:127]// 000000004304: D3D7007C 1DF20984
	v_mfma_i32_16x16x32_i8 v[124:127], a[134:135], a[6:7], v[124:127]// 00000000430C: D3D7007C 1DF20D86
	ds_read_b128 a[32:35], v2                                  // 000000004314: DBFE0000 20000002
	ds_read_b128 a[36:39], v2 offset:64                        // 00000000431C: DBFE0040 24000002
	v_mfma_i32_16x16x32_i8 v[140:143], a[136:137], a[0:1], v[140:143]// 000000004324: D3D7008C 1E320188
	v_mfma_i32_16x16x32_i8 v[140:143], a[138:139], a[2:3], v[140:143]// 00000000432C: D3D7008C 1E32058A
	buffer_load_dwordx4 a[100:103], v54, s[84:87], 0 offen offset:1024// 000000004334: E05C1400 80956436
	v_mfma_i32_16x16x32_i8 v[140:143], a[140:141], a[4:5], v[140:143]// 00000000433C: D3D7008C 1E32098C
	v_mfma_i32_16x16x32_i8 v[140:143], a[142:143], a[6:7], v[140:143]// 000000004344: D3D7008C 1E320D8E
	ds_read_b128 a[40:43], v2 offset:512                       // 00000000434C: DBFE0200 28000002
	ds_read_b128 a[44:47], v2 offset:576                       // 000000004354: DBFE0240 2C000002
	v_mfma_i32_16x16x32_i8 v[156:159], a[144:145], a[0:1], v[156:159]// 00000000435C: D3D7009C 1E720190
	v_mfma_i32_16x16x32_i8 v[156:159], a[146:147], a[2:3], v[156:159]// 000000004364: D3D7009C 1E720592
	buffer_load_dwordx4 a[104:107], v55, s[84:87], 0 offen     // 00000000436C: E05C1000 80956837
	v_mfma_i32_16x16x32_i8 v[156:159], a[148:149], a[4:5], v[156:159]// 000000004374: D3D7009C 1E720994
	v_mfma_i32_16x16x32_i8 v[156:159], a[150:151], a[6:7], v[156:159]// 00000000437C: D3D7009C 1E720D96
	ds_read_b128 a[48:51], v2 offset:1024                      // 000000004384: DBFE0400 30000002
	ds_read_b128 a[52:55], v2 offset:1088                      // 00000000438C: DBFE0440 34000002
	v_mfma_i32_16x16x32_i8 v[172:175], a[152:153], a[0:1], v[172:175]// 000000004394: D3D700AC 1EB20198
	v_mfma_i32_16x16x32_i8 v[172:175], a[154:155], a[2:3], v[172:175]// 00000000439C: D3D700AC 1EB2059A
	buffer_load_dwordx4 a[108:111], v55, s[84:87], 0 offen offset:1024// 0000000043A4: E05C1400 80956C37
	v_mfma_i32_16x16x32_i8 v[172:175], a[156:157], a[4:5], v[172:175]// 0000000043AC: D3D700AC 1EB2099C
	v_mfma_i32_16x16x32_i8 v[172:175], a[158:159], a[6:7], v[172:175]// 0000000043B4: D3D700AC 1EB20D9E
	ds_read_b128 a[56:59], v2 offset:1536                      // 0000000043BC: DBFE0600 38000002
	ds_read_b128 a[60:63], v2 offset:1600                      // 0000000043C4: DBFE0640 3C000002
	v_mfma_i32_16x16x32_i8 v[128:131], a[128:129], a[8:9], v[128:131]// 0000000043CC: D3D70080 1E021180
	v_mfma_i32_16x16x32_i8 v[128:131], a[130:131], a[10:11], v[128:131]// 0000000043D4: D3D70080 1E021582
	buffer_load_dwordx4 a[112:115], v56, s[84:87], 0 offen     // 0000000043DC: E05C1000 80957038
	v_mfma_i32_16x16x32_i8 v[128:131], a[132:133], a[12:13], v[128:131]// 0000000043E4: D3D70080 1E021984
	v_mfma_i32_16x16x32_i8 v[128:131], a[134:135], a[14:15], v[128:131]// 0000000043EC: D3D70080 1E021D86
	v_mfma_i32_16x16x32_i8 v[144:147], a[136:137], a[8:9], v[144:147]// 0000000043F4: D3D70090 1E421188
	v_mfma_i32_16x16x32_i8 v[144:147], a[138:139], a[10:11], v[144:147]// 0000000043FC: D3D70090 1E42158A
	buffer_load_dwordx4 a[116:119], v56, s[84:87], 0 offen offset:1024// 000000004404: E05C1400 80957438
	v_mfma_i32_16x16x32_i8 v[144:147], a[140:141], a[12:13], v[144:147]// 00000000440C: D3D70090 1E42198C
	v_mfma_i32_16x16x32_i8 v[144:147], a[142:143], a[14:15], v[144:147]// 000000004414: D3D70090 1E421D8E
	v_mfma_i32_16x16x32_i8 v[160:163], a[144:145], a[8:9], v[160:163]// 00000000441C: D3D700A0 1E821190
	v_mfma_i32_16x16x32_i8 v[160:163], a[146:147], a[10:11], v[160:163]// 000000004424: D3D700A0 1E821592
	buffer_load_dwordx4 a[120:123], v57, s[84:87], 0 offen     // 00000000442C: E05C1000 80957839
	v_mfma_i32_16x16x32_i8 v[160:163], a[148:149], a[12:13], v[160:163]// 000000004434: D3D700A0 1E821994
	v_mfma_i32_16x16x32_i8 v[160:163], a[150:151], a[14:15], v[160:163]// 00000000443C: D3D700A0 1E821D96
	v_mfma_i32_16x16x32_i8 v[176:179], a[152:153], a[8:9], v[176:179]// 000000004444: D3D700B0 1EC21198
	v_mfma_i32_16x16x32_i8 v[176:179], a[154:155], a[10:11], v[176:179]// 00000000444C: D3D700B0 1EC2159A
	buffer_load_dwordx4 a[124:127], v57, s[84:87], 0 offen offset:1024// 000000004454: E05C1400 80957C39
	v_mfma_i32_16x16x32_i8 v[176:179], a[156:157], a[12:13], v[176:179]// 00000000445C: D3D700B0 1EC2199C
	v_mfma_i32_16x16x32_i8 v[176:179], a[158:159], a[14:15], v[176:179]// 000000004464: D3D700B0 1EC21D9E
	v_mfma_i32_16x16x32_i8 v[132:135], a[128:129], a[16:17], v[132:135]// 00000000446C: D3D70084 1E122180
	v_mfma_i32_16x16x32_i8 v[132:135], a[130:131], a[18:19], v[132:135]// 000000004474: D3D70084 1E122582
	v_mfma_i32_16x16x32_i8 v[132:135], a[132:133], a[20:21], v[132:135]// 00000000447C: D3D70084 1E122984
	v_mfma_i32_16x16x32_i8 v[132:135], a[134:135], a[22:23], v[132:135]// 000000004484: D3D70084 1E122D86
	v_mfma_i32_16x16x32_i8 v[148:151], a[136:137], a[16:17], v[148:151]// 00000000448C: D3D70094 1E522188
	v_mfma_i32_16x16x32_i8 v[148:151], a[138:139], a[18:19], v[148:151]// 000000004494: D3D70094 1E52258A
	v_mfma_i32_16x16x32_i8 v[148:151], a[140:141], a[20:21], v[148:151]// 00000000449C: D3D70094 1E52298C
	v_mfma_i32_16x16x32_i8 v[148:151], a[142:143], a[22:23], v[148:151]// 0000000044A4: D3D70094 1E522D8E
	v_mfma_i32_16x16x32_i8 v[164:167], a[144:145], a[16:17], v[164:167]// 0000000044AC: D3D700A4 1E922190
	v_mfma_i32_16x16x32_i8 v[164:167], a[146:147], a[18:19], v[164:167]// 0000000044B4: D3D700A4 1E922592
	v_mfma_i32_16x16x32_i8 v[164:167], a[148:149], a[20:21], v[164:167]// 0000000044BC: D3D700A4 1E922994
	v_mfma_i32_16x16x32_i8 v[164:167], a[150:151], a[22:23], v[164:167]// 0000000044C4: D3D700A4 1E922D96
	v_mfma_i32_16x16x32_i8 v[180:183], a[152:153], a[16:17], v[180:183]// 0000000044CC: D3D700B4 1ED22198
	v_mfma_i32_16x16x32_i8 v[180:183], a[154:155], a[18:19], v[180:183]// 0000000044D4: D3D700B4 1ED2259A
	v_mfma_i32_16x16x32_i8 v[180:183], a[156:157], a[20:21], v[180:183]// 0000000044DC: D3D700B4 1ED2299C
	v_mfma_i32_16x16x32_i8 v[180:183], a[158:159], a[22:23], v[180:183]// 0000000044E4: D3D700B4 1ED22D9E
	v_mfma_i32_16x16x32_i8 v[136:139], a[128:129], a[24:25], v[136:139]// 0000000044EC: D3D70088 1E223180
	v_mfma_i32_16x16x32_i8 v[136:139], a[130:131], a[26:27], v[136:139]// 0000000044F4: D3D70088 1E223582
	v_mfma_i32_16x16x32_i8 v[136:139], a[132:133], a[28:29], v[136:139]// 0000000044FC: D3D70088 1E223984
	v_mfma_i32_16x16x32_i8 v[136:139], a[134:135], a[30:31], v[136:139]// 000000004504: D3D70088 1E223D86
	v_mfma_i32_16x16x32_i8 v[152:155], a[136:137], a[24:25], v[152:155]// 00000000450C: D3D70098 1E623188
	v_mfma_i32_16x16x32_i8 v[152:155], a[138:139], a[26:27], v[152:155]// 000000004514: D3D70098 1E62358A
	v_mfma_i32_16x16x32_i8 v[152:155], a[140:141], a[28:29], v[152:155]// 00000000451C: D3D70098 1E62398C
	v_mfma_i32_16x16x32_i8 v[152:155], a[142:143], a[30:31], v[152:155]// 000000004524: D3D70098 1E623D8E
	v_mfma_i32_16x16x32_i8 v[168:171], a[144:145], a[24:25], v[168:171]// 00000000452C: D3D700A8 1EA23190
	s_add_u32 s60, 0x180, s80                                  // 000000004534: 803C50FF 00000180
	s_cmp_lt_u32 s60, s81                                      // 00000000453C: BF0A513C
	s_cselect_b32 s57, s57, 0                                  // 000000004540: 85398039
	v_mfma_i32_16x16x32_i8 v[168:171], a[146:147], a[26:27], v[168:171]// 000000004544: D3D700A8 1EA23592
	s_add_u32 s60, 0x100, s80                                  // 00000000454C: 803C50FF 00000100
	s_cmp_lt_u32 s60, s81                                      // 000000004554: BF0A513C
	s_cselect_b32 s58, s58, 0                                  // 000000004558: 853A803A
	v_mfma_i32_16x16x32_i8 v[168:171], a[148:149], a[28:29], v[168:171]// 00000000455C: D3D700A8 1EA23994
	s_add_u32 s60, 0x100, s80                                  // 000000004564: 803C50FF 00000100
	s_cmp_lt_u32 s60, s81                                      // 00000000456C: BF0A513C
	s_cselect_b32 s83, s83, 0                                  // 000000004570: 85538053
	v_mfma_i32_16x16x32_i8 v[168:171], a[150:151], a[30:31], v[168:171]// 000000004574: D3D700A8 1EA23D96
	s_add_u32 s24, s58, s24                                    // 00000000457C: 8018183A
	s_addc_u32 s25, 0, s25                                     // 000000004580: 82191980
	v_mfma_i32_16x16x32_i8 v[184:187], a[152:153], a[24:25], v[184:187]// 000000004584: D3D700B8 1EE23198
	s_add_u32 s20, s57, s20                                    // 00000000458C: 80141439
	s_addc_u32 s21, 0, s21                                     // 000000004590: 82151580
	v_mfma_i32_16x16x32_i8 v[184:187], a[154:155], a[26:27], v[184:187]// 000000004594: D3D700B8 1EE2359A
	s_add_u32 s84, s83, s84                                    // 00000000459C: 80545453
	s_addc_u32 s85, 0, s85                                     // 0000000045A0: 82555580
	v_mfma_i32_16x16x32_i8 v[184:187], a[156:157], a[28:29], v[184:187]// 0000000045A4: D3D700B8 1EE2399C
	v_mfma_i32_16x16x32_i8 v[184:187], a[158:159], a[30:31], v[184:187]// 0000000045AC: D3D700B8 1EE23D9E
	s_addk_i32 s80, 0x80                                       // 0000000045B4: B7500080
	s_cmp_lt_i32 s80, s81                                      // 0000000045B8: BF045150
	s_cbranch_scc0 label_0B26                                  // 0000000045BC: BF840436
	s_waitcnt vmcnt(16) lgkmcnt(0)                             // 0000000045C0: BF8C4070
	v_mfma_i32_16x16x32_i8 v[60:63], a[64:65], a[32:33], v[60:63]// 0000000045C4: D3D7003C 1CF24140
	v_mfma_i32_16x16x32_i8 v[60:63], a[66:67], a[34:35], v[60:63]// 0000000045CC: D3D7003C 1CF24542
	buffer_load_dwordx4 a[128:131], v54, s[24:27], 0 offen     // 0000000045D4: E05C1000 80868036
	v_mfma_i32_16x16x32_i8 v[60:63], a[68:69], a[36:37], v[60:63]// 0000000045DC: D3D7003C 1CF24944
	v_mfma_i32_16x16x32_i8 v[60:63], a[70:71], a[38:39], v[60:63]// 0000000045E4: D3D7003C 1CF24D46
	v_mfma_i32_16x16x32_i8 v[76:79], a[72:73], a[32:33], v[76:79]// 0000000045EC: D3D7004C 1D324148
	v_mfma_i32_16x16x32_i8 v[76:79], a[74:75], a[34:35], v[76:79]// 0000000045F4: D3D7004C 1D32454A
	buffer_load_dwordx4 a[132:135], v54, s[24:27], 0 offen offset:1024// 0000000045FC: E05C1400 80868436
	v_mfma_i32_16x16x32_i8 v[76:79], a[76:77], a[36:37], v[76:79]// 000000004604: D3D7004C 1D32494C
	v_mfma_i32_16x16x32_i8 v[76:79], a[78:79], a[38:39], v[76:79]// 00000000460C: D3D7004C 1D324D4E
	v_mfma_i32_16x16x32_i8 v[92:95], a[80:81], a[32:33], v[92:95]// 000000004614: D3D7005C 1D724150
	v_mfma_i32_16x16x32_i8 v[92:95], a[82:83], a[34:35], v[92:95]// 00000000461C: D3D7005C 1D724552
	buffer_load_dwordx4 a[136:139], v55, s[24:27], 0 offen     // 000000004624: E05C1000 80868837
	v_mfma_i32_16x16x32_i8 v[92:95], a[84:85], a[36:37], v[92:95]// 00000000462C: D3D7005C 1D724954
	v_mfma_i32_16x16x32_i8 v[92:95], a[86:87], a[38:39], v[92:95]// 000000004634: D3D7005C 1D724D56
	v_mfma_i32_16x16x32_i8 v[108:111], a[88:89], a[32:33], v[108:111]// 00000000463C: D3D7006C 1DB24158
	v_mfma_i32_16x16x32_i8 v[108:111], a[90:91], a[34:35], v[108:111]// 000000004644: D3D7006C 1DB2455A
	buffer_load_dwordx4 a[140:143], v55, s[24:27], 0 offen offset:1024// 00000000464C: E05C1400 80868C37
	v_mfma_i32_16x16x32_i8 v[108:111], a[92:93], a[36:37], v[108:111]// 000000004654: D3D7006C 1DB2495C
	v_mfma_i32_16x16x32_i8 v[108:111], a[94:95], a[38:39], v[108:111]// 00000000465C: D3D7006C 1DB24D5E
	v_mfma_i32_16x16x32_i8 v[64:67], a[64:65], a[40:41], v[64:67]// 000000004664: D3D70040 1D025140
	v_mfma_i32_16x16x32_i8 v[64:67], a[66:67], a[42:43], v[64:67]// 00000000466C: D3D70040 1D025542
	buffer_load_dwordx4 a[144:147], v56, s[24:27], 0 offen     // 000000004674: E05C1000 80869038
	v_mfma_i32_16x16x32_i8 v[64:67], a[68:69], a[44:45], v[64:67]// 00000000467C: D3D70040 1D025944
	v_mfma_i32_16x16x32_i8 v[64:67], a[70:71], a[46:47], v[64:67]// 000000004684: D3D70040 1D025D46
	v_mfma_i32_16x16x32_i8 v[80:83], a[72:73], a[40:41], v[80:83]// 00000000468C: D3D70050 1D425148
	v_mfma_i32_16x16x32_i8 v[80:83], a[74:75], a[42:43], v[80:83]// 000000004694: D3D70050 1D42554A
	buffer_load_dwordx4 a[148:151], v56, s[24:27], 0 offen offset:1024// 00000000469C: E05C1400 80869438
	v_mfma_i32_16x16x32_i8 v[80:83], a[76:77], a[44:45], v[80:83]// 0000000046A4: D3D70050 1D42594C
	v_mfma_i32_16x16x32_i8 v[80:83], a[78:79], a[46:47], v[80:83]// 0000000046AC: D3D70050 1D425D4E
	v_mfma_i32_16x16x32_i8 v[96:99], a[80:81], a[40:41], v[96:99]// 0000000046B4: D3D70060 1D825150
	v_mfma_i32_16x16x32_i8 v[96:99], a[82:83], a[42:43], v[96:99]// 0000000046BC: D3D70060 1D825552
	buffer_load_dwordx4 a[152:155], v57, s[24:27], 0 offen     // 0000000046C4: E05C1000 80869839
	v_mfma_i32_16x16x32_i8 v[96:99], a[84:85], a[44:45], v[96:99]// 0000000046CC: D3D70060 1D825954
	v_mfma_i32_16x16x32_i8 v[96:99], a[86:87], a[46:47], v[96:99]// 0000000046D4: D3D70060 1D825D56
	v_mfma_i32_16x16x32_i8 v[112:115], a[88:89], a[40:41], v[112:115]// 0000000046DC: D3D70070 1DC25158
	v_mfma_i32_16x16x32_i8 v[112:115], a[90:91], a[42:43], v[112:115]// 0000000046E4: D3D70070 1DC2555A
	buffer_load_dwordx4 a[156:159], v57, s[24:27], 0 offen offset:1024// 0000000046EC: E05C1400 80869C39
	buffer_load_dword v46, s[20:23], 0 offen lds               // 0000000046F4: E0511000 8005002E
	s_add_u32 m0, 0x100, s50                                   // 0000000046FC: 807C32FF 00000100
	v_mfma_i32_16x16x32_i8 v[112:115], a[92:93], a[44:45], v[112:115]// 000000004704: D3D70070 1DC2595C
	v_mfma_i32_16x16x32_i8 v[112:115], a[94:95], a[46:47], v[112:115]// 00000000470C: D3D70070 1DC25D5E
	buffer_load_dword v47, s[20:23], 0 offen lds               // 000000004714: E0511000 8005002F
	s_add_u32 m0, 0x200, s50                                   // 00000000471C: 807C32FF 00000200
	v_mfma_i32_16x16x32_i8 v[68:71], a[64:65], a[48:49], v[68:71]// 000000004724: D3D70044 1D126140
	v_mfma_i32_16x16x32_i8 v[68:71], a[66:67], a[50:51], v[68:71]// 00000000472C: D3D70044 1D126542
	buffer_load_dword v48, s[20:23], 0 offen lds               // 000000004734: E0511000 80050030
	s_add_u32 m0, 0x300, s50                                   // 00000000473C: 807C32FF 00000300
	v_mfma_i32_16x16x32_i8 v[68:71], a[68:69], a[52:53], v[68:71]// 000000004744: D3D70044 1D126944
	v_mfma_i32_16x16x32_i8 v[68:71], a[70:71], a[54:55], v[68:71]// 00000000474C: D3D70044 1D126D46
	buffer_load_dword v49, s[20:23], 0 offen lds               // 000000004754: E0511000 80050031
	s_add_u32 m0, 0x400, s50                                   // 00000000475C: 807C32FF 00000400
	v_mfma_i32_16x16x32_i8 v[84:87], a[72:73], a[48:49], v[84:87]// 000000004764: D3D70054 1D526148
	v_mfma_i32_16x16x32_i8 v[84:87], a[74:75], a[50:51], v[84:87]// 00000000476C: D3D70054 1D52654A
	buffer_load_dword v50, s[20:23], 0 offen lds               // 000000004774: E0511000 80050032
	s_add_u32 m0, 0x500, s50                                   // 00000000477C: 807C32FF 00000500
	v_mfma_i32_16x16x32_i8 v[84:87], a[76:77], a[52:53], v[84:87]// 000000004784: D3D70054 1D52694C
	v_mfma_i32_16x16x32_i8 v[84:87], a[78:79], a[54:55], v[84:87]// 00000000478C: D3D70054 1D526D4E
	buffer_load_dword v51, s[20:23], 0 offen lds               // 000000004794: E0511000 80050033
	s_add_u32 m0, 0x600, s50                                   // 00000000479C: 807C32FF 00000600
	v_mfma_i32_16x16x32_i8 v[100:103], a[80:81], a[48:49], v[100:103]// 0000000047A4: D3D70064 1D926150
	v_mfma_i32_16x16x32_i8 v[100:103], a[82:83], a[50:51], v[100:103]// 0000000047AC: D3D70064 1D926552
	buffer_load_dword v52, s[20:23], 0 offen lds               // 0000000047B4: E0511000 80050034
	s_add_u32 m0, 0x700, s50                                   // 0000000047BC: 807C32FF 00000700
	v_mfma_i32_16x16x32_i8 v[100:103], a[84:85], a[52:53], v[100:103]// 0000000047C4: D3D70064 1D926954
	v_mfma_i32_16x16x32_i8 v[100:103], a[86:87], a[54:55], v[100:103]// 0000000047CC: D3D70064 1D926D56
	buffer_load_dword v53, s[20:23], 0 offen lds               // 0000000047D4: E0511000 80050035
	s_add_u32 m0, 0, s48                                       // 0000000047DC: 807C3080
	v_mfma_i32_16x16x32_i8 v[116:119], a[88:89], a[48:49], v[116:119]// 0000000047E0: D3D70074 1DD26158
	v_mfma_i32_16x16x32_i8 v[116:119], a[90:91], a[50:51], v[116:119]// 0000000047E8: D3D70074 1DD2655A
	v_mfma_i32_16x16x32_i8 v[116:119], a[92:93], a[52:53], v[116:119]// 0000000047F0: D3D70074 1DD2695C
	v_mfma_i32_16x16x32_i8 v[116:119], a[94:95], a[54:55], v[116:119]// 0000000047F8: D3D70074 1DD26D5E
	v_mfma_i32_16x16x32_i8 v[72:75], a[64:65], a[56:57], v[72:75]// 000000004800: D3D70048 1D227140
	v_mfma_i32_16x16x32_i8 v[72:75], a[66:67], a[58:59], v[72:75]// 000000004808: D3D70048 1D227542
	v_mfma_i32_16x16x32_i8 v[72:75], a[68:69], a[60:61], v[72:75]// 000000004810: D3D70048 1D227944
	v_mfma_i32_16x16x32_i8 v[72:75], a[70:71], a[62:63], v[72:75]// 000000004818: D3D70048 1D227D46
	v_mfma_i32_16x16x32_i8 v[88:91], a[72:73], a[56:57], v[88:91]// 000000004820: D3D70058 1D627148
	v_mfma_i32_16x16x32_i8 v[88:91], a[74:75], a[58:59], v[88:91]// 000000004828: D3D70058 1D62754A
	v_mfma_i32_16x16x32_i8 v[88:91], a[76:77], a[60:61], v[88:91]// 000000004830: D3D70058 1D62794C
	v_mfma_i32_16x16x32_i8 v[88:91], a[78:79], a[62:63], v[88:91]// 000000004838: D3D70058 1D627D4E
	v_mfma_i32_16x16x32_i8 v[104:107], a[80:81], a[56:57], v[104:107]// 000000004840: D3D70068 1DA27150
	v_mfma_i32_16x16x32_i8 v[104:107], a[82:83], a[58:59], v[104:107]// 000000004848: D3D70068 1DA27552
	v_mfma_i32_16x16x32_i8 v[104:107], a[84:85], a[60:61], v[104:107]// 000000004850: D3D70068 1DA27954
	v_mfma_i32_16x16x32_i8 v[104:107], a[86:87], a[62:63], v[104:107]// 000000004858: D3D70068 1DA27D56
	v_mfma_i32_16x16x32_i8 v[120:123], a[88:89], a[56:57], v[120:123]// 000000004860: D3D70078 1DE27158
	v_mfma_i32_16x16x32_i8 v[120:123], a[90:91], a[58:59], v[120:123]// 000000004868: D3D70078 1DE2755A
	v_mfma_i32_16x16x32_i8 v[120:123], a[92:93], a[60:61], v[120:123]// 000000004870: D3D70078 1DE2795C
	v_mfma_i32_16x16x32_i8 v[120:123], a[94:95], a[62:63], v[120:123]// 000000004878: D3D70078 1DE27D5E
	s_waitcnt vmcnt(16)                                        // 000000004880: BF8C4F70
	s_barrier                                                  // 000000004884: BF8A0000
	v_mfma_i32_16x16x32_i8 v[124:127], a[96:97], a[32:33], v[124:127]// 000000004888: D3D7007C 1DF24160
	v_mfma_i32_16x16x32_i8 v[124:127], a[98:99], a[34:35], v[124:127]// 000000004890: D3D7007C 1DF24562
	buffer_load_dwordx4 a[64:67], v54, s[84:87], 0 offen       // 000000004898: E05C1000 80954036
	v_mfma_i32_16x16x32_i8 v[124:127], a[100:101], a[36:37], v[124:127]// 0000000048A0: D3D7007C 1DF24964
	v_mfma_i32_16x16x32_i8 v[124:127], a[102:103], a[38:39], v[124:127]// 0000000048A8: D3D7007C 1DF24D66
	ds_read_b128 a[0:3], v2 offset:8320                        // 0000000048B0: DBFE2080 00000002
	ds_read_b128 a[4:7], v2 offset:8384                        // 0000000048B8: DBFE20C0 04000002
	v_mfma_i32_16x16x32_i8 v[140:143], a[104:105], a[32:33], v[140:143]// 0000000048C0: D3D7008C 1E324168
	v_mfma_i32_16x16x32_i8 v[140:143], a[106:107], a[34:35], v[140:143]// 0000000048C8: D3D7008C 1E32456A
	buffer_load_dwordx4 a[68:71], v54, s[84:87], 0 offen offset:1024// 0000000048D0: E05C1400 80954436
	v_mfma_i32_16x16x32_i8 v[140:143], a[108:109], a[36:37], v[140:143]// 0000000048D8: D3D7008C 1E32496C
	v_mfma_i32_16x16x32_i8 v[140:143], a[110:111], a[38:39], v[140:143]// 0000000048E0: D3D7008C 1E324D6E
	ds_read_b128 a[8:11], v2 offset:8832                       // 0000000048E8: DBFE2280 08000002
	ds_read_b128 a[12:15], v2 offset:8896                      // 0000000048F0: DBFE22C0 0C000002
	v_mfma_i32_16x16x32_i8 v[156:159], a[112:113], a[32:33], v[156:159]// 0000000048F8: D3D7009C 1E724170
	v_mfma_i32_16x16x32_i8 v[156:159], a[114:115], a[34:35], v[156:159]// 000000004900: D3D7009C 1E724572
	buffer_load_dwordx4 a[72:75], v55, s[84:87], 0 offen       // 000000004908: E05C1000 80954837
	v_mfma_i32_16x16x32_i8 v[156:159], a[116:117], a[36:37], v[156:159]// 000000004910: D3D7009C 1E724974
	v_mfma_i32_16x16x32_i8 v[156:159], a[118:119], a[38:39], v[156:159]// 000000004918: D3D7009C 1E724D76
	ds_read_b128 a[16:19], v2 offset:9344                      // 000000004920: DBFE2480 10000002
	ds_read_b128 a[20:23], v2 offset:9408                      // 000000004928: DBFE24C0 14000002
	v_mfma_i32_16x16x32_i8 v[172:175], a[120:121], a[32:33], v[172:175]// 000000004930: D3D700AC 1EB24178
	v_mfma_i32_16x16x32_i8 v[172:175], a[122:123], a[34:35], v[172:175]// 000000004938: D3D700AC 1EB2457A
	buffer_load_dwordx4 a[76:79], v55, s[84:87], 0 offen offset:1024// 000000004940: E05C1400 80954C37
	v_mfma_i32_16x16x32_i8 v[172:175], a[124:125], a[36:37], v[172:175]// 000000004948: D3D700AC 1EB2497C
	v_mfma_i32_16x16x32_i8 v[172:175], a[126:127], a[38:39], v[172:175]// 000000004950: D3D700AC 1EB24D7E
	ds_read_b128 a[24:27], v2 offset:9856                      // 000000004958: DBFE2680 18000002
	ds_read_b128 a[28:31], v2 offset:9920                      // 000000004960: DBFE26C0 1C000002
	v_mfma_i32_16x16x32_i8 v[128:131], a[96:97], a[40:41], v[128:131]// 000000004968: D3D70080 1E025160
	v_mfma_i32_16x16x32_i8 v[128:131], a[98:99], a[42:43], v[128:131]// 000000004970: D3D70080 1E025562
	buffer_load_dwordx4 a[80:83], v56, s[84:87], 0 offen       // 000000004978: E05C1000 80955038
	v_mfma_i32_16x16x32_i8 v[128:131], a[100:101], a[44:45], v[128:131]// 000000004980: D3D70080 1E025964
	v_mfma_i32_16x16x32_i8 v[128:131], a[102:103], a[46:47], v[128:131]// 000000004988: D3D70080 1E025D66
	v_mfma_i32_16x16x32_i8 v[144:147], a[104:105], a[40:41], v[144:147]// 000000004990: D3D70090 1E425168
	v_mfma_i32_16x16x32_i8 v[144:147], a[106:107], a[42:43], v[144:147]// 000000004998: D3D70090 1E42556A
	buffer_load_dwordx4 a[84:87], v56, s[84:87], 0 offen offset:1024// 0000000049A0: E05C1400 80955438
	v_mfma_i32_16x16x32_i8 v[144:147], a[108:109], a[44:45], v[144:147]// 0000000049A8: D3D70090 1E42596C
	v_mfma_i32_16x16x32_i8 v[144:147], a[110:111], a[46:47], v[144:147]// 0000000049B0: D3D70090 1E425D6E
	v_mfma_i32_16x16x32_i8 v[160:163], a[112:113], a[40:41], v[160:163]// 0000000049B8: D3D700A0 1E825170
	v_mfma_i32_16x16x32_i8 v[160:163], a[114:115], a[42:43], v[160:163]// 0000000049C0: D3D700A0 1E825572
	buffer_load_dwordx4 a[88:91], v57, s[84:87], 0 offen       // 0000000049C8: E05C1000 80955839
	v_mfma_i32_16x16x32_i8 v[160:163], a[116:117], a[44:45], v[160:163]// 0000000049D0: D3D700A0 1E825974
	v_mfma_i32_16x16x32_i8 v[160:163], a[118:119], a[46:47], v[160:163]// 0000000049D8: D3D700A0 1E825D76
	v_mfma_i32_16x16x32_i8 v[176:179], a[120:121], a[40:41], v[176:179]// 0000000049E0: D3D700B0 1EC25178
	v_mfma_i32_16x16x32_i8 v[176:179], a[122:123], a[42:43], v[176:179]// 0000000049E8: D3D700B0 1EC2557A
	buffer_load_dwordx4 a[92:95], v57, s[84:87], 0 offen offset:1024// 0000000049F0: E05C1400 80955C39
	v_mfma_i32_16x16x32_i8 v[176:179], a[124:125], a[44:45], v[176:179]// 0000000049F8: D3D700B0 1EC2597C
	v_mfma_i32_16x16x32_i8 v[176:179], a[126:127], a[46:47], v[176:179]// 000000004A00: D3D700B0 1EC25D7E
	v_mfma_i32_16x16x32_i8 v[132:135], a[96:97], a[48:49], v[132:135]// 000000004A08: D3D70084 1E126160
	v_mfma_i32_16x16x32_i8 v[132:135], a[98:99], a[50:51], v[132:135]// 000000004A10: D3D70084 1E126562
	v_mfma_i32_16x16x32_i8 v[132:135], a[100:101], a[52:53], v[132:135]// 000000004A18: D3D70084 1E126964
	v_mfma_i32_16x16x32_i8 v[132:135], a[102:103], a[54:55], v[132:135]// 000000004A20: D3D70084 1E126D66
	v_mfma_i32_16x16x32_i8 v[148:151], a[104:105], a[48:49], v[148:151]// 000000004A28: D3D70094 1E526168
	v_mfma_i32_16x16x32_i8 v[148:151], a[106:107], a[50:51], v[148:151]// 000000004A30: D3D70094 1E52656A
	v_mfma_i32_16x16x32_i8 v[148:151], a[108:109], a[52:53], v[148:151]// 000000004A38: D3D70094 1E52696C
	v_mfma_i32_16x16x32_i8 v[148:151], a[110:111], a[54:55], v[148:151]// 000000004A40: D3D70094 1E526D6E
	v_mfma_i32_16x16x32_i8 v[164:167], a[112:113], a[48:49], v[164:167]// 000000004A48: D3D700A4 1E926170
	v_mfma_i32_16x16x32_i8 v[164:167], a[114:115], a[50:51], v[164:167]// 000000004A50: D3D700A4 1E926572
	v_mfma_i32_16x16x32_i8 v[164:167], a[116:117], a[52:53], v[164:167]// 000000004A58: D3D700A4 1E926974
	v_mfma_i32_16x16x32_i8 v[164:167], a[118:119], a[54:55], v[164:167]// 000000004A60: D3D700A4 1E926D76
	v_mfma_i32_16x16x32_i8 v[180:183], a[120:121], a[48:49], v[180:183]// 000000004A68: D3D700B4 1ED26178
	v_mfma_i32_16x16x32_i8 v[180:183], a[122:123], a[50:51], v[180:183]// 000000004A70: D3D700B4 1ED2657A
	v_mfma_i32_16x16x32_i8 v[180:183], a[124:125], a[52:53], v[180:183]// 000000004A78: D3D700B4 1ED2697C
	v_mfma_i32_16x16x32_i8 v[180:183], a[126:127], a[54:55], v[180:183]// 000000004A80: D3D700B4 1ED26D7E
	v_mfma_i32_16x16x32_i8 v[136:139], a[96:97], a[56:57], v[136:139]// 000000004A88: D3D70088 1E227160
	v_mfma_i32_16x16x32_i8 v[136:139], a[98:99], a[58:59], v[136:139]// 000000004A90: D3D70088 1E227562
	v_mfma_i32_16x16x32_i8 v[136:139], a[100:101], a[60:61], v[136:139]// 000000004A98: D3D70088 1E227964
	v_mfma_i32_16x16x32_i8 v[136:139], a[102:103], a[62:63], v[136:139]// 000000004AA0: D3D70088 1E227D66
	v_mfma_i32_16x16x32_i8 v[152:155], a[104:105], a[56:57], v[152:155]// 000000004AA8: D3D70098 1E627168
	v_mfma_i32_16x16x32_i8 v[152:155], a[106:107], a[58:59], v[152:155]// 000000004AB0: D3D70098 1E62756A
	v_mfma_i32_16x16x32_i8 v[152:155], a[108:109], a[60:61], v[152:155]// 000000004AB8: D3D70098 1E62796C
	v_mfma_i32_16x16x32_i8 v[152:155], a[110:111], a[62:63], v[152:155]// 000000004AC0: D3D70098 1E627D6E
	v_mfma_i32_16x16x32_i8 v[168:171], a[112:113], a[56:57], v[168:171]// 000000004AC8: D3D700A8 1EA27170
	s_add_u32 s60, 0x180, s80                                  // 000000004AD0: 803C50FF 00000180
	s_cmp_lt_u32 s60, s81                                      // 000000004AD8: BF0A513C
	s_cselect_b32 s57, s57, 0                                  // 000000004ADC: 85398039
	v_mfma_i32_16x16x32_i8 v[168:171], a[114:115], a[58:59], v[168:171]// 000000004AE0: D3D700A8 1EA27572
	s_add_u32 s60, 0x100, s80                                  // 000000004AE8: 803C50FF 00000100
	s_cmp_lt_u32 s60, s81                                      // 000000004AF0: BF0A513C
	s_cselect_b32 s58, s58, 0                                  // 000000004AF4: 853A803A
	v_mfma_i32_16x16x32_i8 v[168:171], a[116:117], a[60:61], v[168:171]// 000000004AF8: D3D700A8 1EA27974
	s_add_u32 s60, 0x100, s80                                  // 000000004B00: 803C50FF 00000100
	s_cmp_lt_u32 s60, s81                                      // 000000004B08: BF0A513C
	s_cselect_b32 s83, s83, 0                                  // 000000004B0C: 85538053
	v_mfma_i32_16x16x32_i8 v[168:171], a[118:119], a[62:63], v[168:171]// 000000004B10: D3D700A8 1EA27D76
	s_add_u32 s24, s58, s24                                    // 000000004B18: 8018183A
	s_addc_u32 s25, 0, s25                                     // 000000004B1C: 82191980
	v_mfma_i32_16x16x32_i8 v[184:187], a[120:121], a[56:57], v[184:187]// 000000004B20: D3D700B8 1EE27178
	s_add_u32 s20, s57, s20                                    // 000000004B28: 80141439
	s_addc_u32 s21, 0, s21                                     // 000000004B2C: 82151580
	v_mfma_i32_16x16x32_i8 v[184:187], a[122:123], a[58:59], v[184:187]// 000000004B30: D3D700B8 1EE2757A
	s_add_u32 s84, s83, s84                                    // 000000004B38: 80545453
	s_addc_u32 s85, 0, s85                                     // 000000004B3C: 82555580
	v_mfma_i32_16x16x32_i8 v[184:187], a[124:125], a[60:61], v[184:187]// 000000004B40: D3D700B8 1EE2797C
	v_mfma_i32_16x16x32_i8 v[184:187], a[126:127], a[62:63], v[184:187]// 000000004B48: D3D700B8 1EE27D7E
	s_addk_i32 s80, 0x80                                       // 000000004B50: B7500080
	s_cmp_lt_i32 s80, s81                                      // 000000004B54: BF045150
	s_cbranch_scc0 label_0B26                                  // 000000004B58: BF8402CF
	s_waitcnt vmcnt(16) lgkmcnt(0)                             // 000000004B5C: BF8C4070
	v_mfma_i32_16x16x32_i8 v[60:63], a[128:129], a[0:1], v[60:63]// 000000004B60: D3D7003C 1CF20180
	v_mfma_i32_16x16x32_i8 v[60:63], a[130:131], a[2:3], v[60:63]// 000000004B68: D3D7003C 1CF20582
	buffer_load_dwordx4 a[96:99], v54, s[24:27], 0 offen       // 000000004B70: E05C1000 80866036
	v_mfma_i32_16x16x32_i8 v[60:63], a[132:133], a[4:5], v[60:63]// 000000004B78: D3D7003C 1CF20984
	v_mfma_i32_16x16x32_i8 v[60:63], a[134:135], a[6:7], v[60:63]// 000000004B80: D3D7003C 1CF20D86
	v_mfma_i32_16x16x32_i8 v[76:79], a[136:137], a[0:1], v[76:79]// 000000004B88: D3D7004C 1D320188
	v_mfma_i32_16x16x32_i8 v[76:79], a[138:139], a[2:3], v[76:79]// 000000004B90: D3D7004C 1D32058A
	buffer_load_dwordx4 a[100:103], v54, s[24:27], 0 offen offset:1024// 000000004B98: E05C1400 80866436
	v_mfma_i32_16x16x32_i8 v[76:79], a[140:141], a[4:5], v[76:79]// 000000004BA0: D3D7004C 1D32098C
	v_mfma_i32_16x16x32_i8 v[76:79], a[142:143], a[6:7], v[76:79]// 000000004BA8: D3D7004C 1D320D8E
	v_mfma_i32_16x16x32_i8 v[92:95], a[144:145], a[0:1], v[92:95]// 000000004BB0: D3D7005C 1D720190
	v_mfma_i32_16x16x32_i8 v[92:95], a[146:147], a[2:3], v[92:95]// 000000004BB8: D3D7005C 1D720592
	buffer_load_dwordx4 a[104:107], v55, s[24:27], 0 offen     // 000000004BC0: E05C1000 80866837
	v_mfma_i32_16x16x32_i8 v[92:95], a[148:149], a[4:5], v[92:95]// 000000004BC8: D3D7005C 1D720994
	v_mfma_i32_16x16x32_i8 v[92:95], a[150:151], a[6:7], v[92:95]// 000000004BD0: D3D7005C 1D720D96
	v_mfma_i32_16x16x32_i8 v[108:111], a[152:153], a[0:1], v[108:111]// 000000004BD8: D3D7006C 1DB20198
	v_mfma_i32_16x16x32_i8 v[108:111], a[154:155], a[2:3], v[108:111]// 000000004BE0: D3D7006C 1DB2059A
	buffer_load_dwordx4 a[108:111], v55, s[24:27], 0 offen offset:1024// 000000004BE8: E05C1400 80866C37
	v_mfma_i32_16x16x32_i8 v[108:111], a[156:157], a[4:5], v[108:111]// 000000004BF0: D3D7006C 1DB2099C
	v_mfma_i32_16x16x32_i8 v[108:111], a[158:159], a[6:7], v[108:111]// 000000004BF8: D3D7006C 1DB20D9E
	v_mfma_i32_16x16x32_i8 v[64:67], a[128:129], a[8:9], v[64:67]// 000000004C00: D3D70040 1D021180
	v_mfma_i32_16x16x32_i8 v[64:67], a[130:131], a[10:11], v[64:67]// 000000004C08: D3D70040 1D021582
	buffer_load_dwordx4 a[112:115], v56, s[24:27], 0 offen     // 000000004C10: E05C1000 80867038
	v_mfma_i32_16x16x32_i8 v[64:67], a[132:133], a[12:13], v[64:67]// 000000004C18: D3D70040 1D021984
	v_mfma_i32_16x16x32_i8 v[64:67], a[134:135], a[14:15], v[64:67]// 000000004C20: D3D70040 1D021D86
	v_mfma_i32_16x16x32_i8 v[80:83], a[136:137], a[8:9], v[80:83]// 000000004C28: D3D70050 1D421188
	v_mfma_i32_16x16x32_i8 v[80:83], a[138:139], a[10:11], v[80:83]// 000000004C30: D3D70050 1D42158A
	buffer_load_dwordx4 a[116:119], v56, s[24:27], 0 offen offset:1024// 000000004C38: E05C1400 80867438
	v_mfma_i32_16x16x32_i8 v[80:83], a[140:141], a[12:13], v[80:83]// 000000004C40: D3D70050 1D42198C
	v_mfma_i32_16x16x32_i8 v[80:83], a[142:143], a[14:15], v[80:83]// 000000004C48: D3D70050 1D421D8E
	v_mfma_i32_16x16x32_i8 v[96:99], a[144:145], a[8:9], v[96:99]// 000000004C50: D3D70060 1D821190
	v_mfma_i32_16x16x32_i8 v[96:99], a[146:147], a[10:11], v[96:99]// 000000004C58: D3D70060 1D821592
	buffer_load_dwordx4 a[120:123], v57, s[24:27], 0 offen     // 000000004C60: E05C1000 80867839
	v_mfma_i32_16x16x32_i8 v[96:99], a[148:149], a[12:13], v[96:99]// 000000004C68: D3D70060 1D821994
	v_mfma_i32_16x16x32_i8 v[96:99], a[150:151], a[14:15], v[96:99]// 000000004C70: D3D70060 1D821D96
	v_mfma_i32_16x16x32_i8 v[112:115], a[152:153], a[8:9], v[112:115]// 000000004C78: D3D70070 1DC21198
	v_mfma_i32_16x16x32_i8 v[112:115], a[154:155], a[10:11], v[112:115]// 000000004C80: D3D70070 1DC2159A
	buffer_load_dwordx4 a[124:127], v57, s[24:27], 0 offen offset:1024// 000000004C88: E05C1400 80867C39
	buffer_load_dword v46, s[20:23], 0 offen lds               // 000000004C90: E0511000 8005002E
	s_add_u32 m0, 0x100, s48                                   // 000000004C98: 807C30FF 00000100
	v_mfma_i32_16x16x32_i8 v[112:115], a[156:157], a[12:13], v[112:115]// 000000004CA0: D3D70070 1DC2199C
	v_mfma_i32_16x16x32_i8 v[112:115], a[158:159], a[14:15], v[112:115]// 000000004CA8: D3D70070 1DC21D9E
	buffer_load_dword v47, s[20:23], 0 offen lds               // 000000004CB0: E0511000 8005002F
	s_add_u32 m0, 0x200, s48                                   // 000000004CB8: 807C30FF 00000200
	v_mfma_i32_16x16x32_i8 v[68:71], a[128:129], a[16:17], v[68:71]// 000000004CC0: D3D70044 1D122180
	v_mfma_i32_16x16x32_i8 v[68:71], a[130:131], a[18:19], v[68:71]// 000000004CC8: D3D70044 1D122582
	buffer_load_dword v48, s[20:23], 0 offen lds               // 000000004CD0: E0511000 80050030
	s_add_u32 m0, 0x300, s48                                   // 000000004CD8: 807C30FF 00000300
	v_mfma_i32_16x16x32_i8 v[68:71], a[132:133], a[20:21], v[68:71]// 000000004CE0: D3D70044 1D122984
	v_mfma_i32_16x16x32_i8 v[68:71], a[134:135], a[22:23], v[68:71]// 000000004CE8: D3D70044 1D122D86
	buffer_load_dword v49, s[20:23], 0 offen lds               // 000000004CF0: E0511000 80050031
	s_add_u32 m0, 0x400, s48                                   // 000000004CF8: 807C30FF 00000400
	v_mfma_i32_16x16x32_i8 v[84:87], a[136:137], a[16:17], v[84:87]// 000000004D00: D3D70054 1D522188
	v_mfma_i32_16x16x32_i8 v[84:87], a[138:139], a[18:19], v[84:87]// 000000004D08: D3D70054 1D52258A
	buffer_load_dword v50, s[20:23], 0 offen lds               // 000000004D10: E0511000 80050032
	s_add_u32 m0, 0x500, s48                                   // 000000004D18: 807C30FF 00000500
	v_mfma_i32_16x16x32_i8 v[84:87], a[140:141], a[20:21], v[84:87]// 000000004D20: D3D70054 1D52298C
	v_mfma_i32_16x16x32_i8 v[84:87], a[142:143], a[22:23], v[84:87]// 000000004D28: D3D70054 1D522D8E
	buffer_load_dword v51, s[20:23], 0 offen lds               // 000000004D30: E0511000 80050033
	s_add_u32 m0, 0x600, s48                                   // 000000004D38: 807C30FF 00000600
	v_mfma_i32_16x16x32_i8 v[100:103], a[144:145], a[16:17], v[100:103]// 000000004D40: D3D70064 1D922190
	v_mfma_i32_16x16x32_i8 v[100:103], a[146:147], a[18:19], v[100:103]// 000000004D48: D3D70064 1D922592
	buffer_load_dword v52, s[20:23], 0 offen lds               // 000000004D50: E0511000 80050034
	s_add_u32 m0, 0x700, s48                                   // 000000004D58: 807C30FF 00000700
	v_mfma_i32_16x16x32_i8 v[100:103], a[148:149], a[20:21], v[100:103]// 000000004D60: D3D70064 1D922994
	v_mfma_i32_16x16x32_i8 v[100:103], a[150:151], a[22:23], v[100:103]// 000000004D68: D3D70064 1D922D96
	buffer_load_dword v53, s[20:23], 0 offen lds               // 000000004D70: E0511000 80050035
	s_add_u32 m0, 0, s49                                       // 000000004D78: 807C3180
	v_mfma_i32_16x16x32_i8 v[116:119], a[152:153], a[16:17], v[116:119]// 000000004D7C: D3D70074 1DD22198
	v_mfma_i32_16x16x32_i8 v[116:119], a[154:155], a[18:19], v[116:119]// 000000004D84: D3D70074 1DD2259A
	v_mfma_i32_16x16x32_i8 v[116:119], a[156:157], a[20:21], v[116:119]// 000000004D8C: D3D70074 1DD2299C
	v_mfma_i32_16x16x32_i8 v[116:119], a[158:159], a[22:23], v[116:119]// 000000004D94: D3D70074 1DD22D9E
	v_mfma_i32_16x16x32_i8 v[72:75], a[128:129], a[24:25], v[72:75]// 000000004D9C: D3D70048 1D223180
	v_mfma_i32_16x16x32_i8 v[72:75], a[130:131], a[26:27], v[72:75]// 000000004DA4: D3D70048 1D223582
	v_mfma_i32_16x16x32_i8 v[72:75], a[132:133], a[28:29], v[72:75]// 000000004DAC: D3D70048 1D223984
	v_mfma_i32_16x16x32_i8 v[72:75], a[134:135], a[30:31], v[72:75]// 000000004DB4: D3D70048 1D223D86
	v_mfma_i32_16x16x32_i8 v[88:91], a[136:137], a[24:25], v[88:91]// 000000004DBC: D3D70058 1D623188
	v_mfma_i32_16x16x32_i8 v[88:91], a[138:139], a[26:27], v[88:91]// 000000004DC4: D3D70058 1D62358A
	v_mfma_i32_16x16x32_i8 v[88:91], a[140:141], a[28:29], v[88:91]// 000000004DCC: D3D70058 1D62398C
	v_mfma_i32_16x16x32_i8 v[88:91], a[142:143], a[30:31], v[88:91]// 000000004DD4: D3D70058 1D623D8E
	v_mfma_i32_16x16x32_i8 v[104:107], a[144:145], a[24:25], v[104:107]// 000000004DDC: D3D70068 1DA23190
	v_mfma_i32_16x16x32_i8 v[104:107], a[146:147], a[26:27], v[104:107]// 000000004DE4: D3D70068 1DA23592
	v_mfma_i32_16x16x32_i8 v[104:107], a[148:149], a[28:29], v[104:107]// 000000004DEC: D3D70068 1DA23994
	v_mfma_i32_16x16x32_i8 v[104:107], a[150:151], a[30:31], v[104:107]// 000000004DF4: D3D70068 1DA23D96
	v_mfma_i32_16x16x32_i8 v[120:123], a[152:153], a[24:25], v[120:123]// 000000004DFC: D3D70078 1DE23198
	v_mfma_i32_16x16x32_i8 v[120:123], a[154:155], a[26:27], v[120:123]// 000000004E04: D3D70078 1DE2359A
	v_mfma_i32_16x16x32_i8 v[120:123], a[156:157], a[28:29], v[120:123]// 000000004E0C: D3D70078 1DE2399C
	v_mfma_i32_16x16x32_i8 v[120:123], a[158:159], a[30:31], v[120:123]// 000000004E14: D3D70078 1DE23D9E
	s_waitcnt vmcnt(16)                                        // 000000004E1C: BF8C4F70
	s_barrier                                                  // 000000004E20: BF8A0000
	v_mfma_i32_16x16x32_i8 v[124:127], a[64:65], a[0:1], v[124:127]// 000000004E24: D3D7007C 1DF20140
	v_mfma_i32_16x16x32_i8 v[124:127], a[66:67], a[2:3], v[124:127]// 000000004E2C: D3D7007C 1DF20542
	buffer_load_dwordx4 a[128:131], v54, s[84:87], 0 offen     // 000000004E34: E05C1000 80958036
	v_mfma_i32_16x16x32_i8 v[124:127], a[68:69], a[4:5], v[124:127]// 000000004E3C: D3D7007C 1DF20944
	v_mfma_i32_16x16x32_i8 v[124:127], a[70:71], a[6:7], v[124:127]// 000000004E44: D3D7007C 1DF20D46
	ds_read_b128 a[32:35], v2 offset:16640                     // 000000004E4C: DBFE4100 20000002
	ds_read_b128 a[36:39], v2 offset:16704                     // 000000004E54: DBFE4140 24000002
	v_mfma_i32_16x16x32_i8 v[140:143], a[72:73], a[0:1], v[140:143]// 000000004E5C: D3D7008C 1E320148
	v_mfma_i32_16x16x32_i8 v[140:143], a[74:75], a[2:3], v[140:143]// 000000004E64: D3D7008C 1E32054A
	buffer_load_dwordx4 a[132:135], v54, s[84:87], 0 offen offset:1024// 000000004E6C: E05C1400 80958436
	v_mfma_i32_16x16x32_i8 v[140:143], a[76:77], a[4:5], v[140:143]// 000000004E74: D3D7008C 1E32094C
	v_mfma_i32_16x16x32_i8 v[140:143], a[78:79], a[6:7], v[140:143]// 000000004E7C: D3D7008C 1E320D4E
	ds_read_b128 a[40:43], v2 offset:17152                     // 000000004E84: DBFE4300 28000002
	ds_read_b128 a[44:47], v2 offset:17216                     // 000000004E8C: DBFE4340 2C000002
	v_mfma_i32_16x16x32_i8 v[156:159], a[80:81], a[0:1], v[156:159]// 000000004E94: D3D7009C 1E720150
	v_mfma_i32_16x16x32_i8 v[156:159], a[82:83], a[2:3], v[156:159]// 000000004E9C: D3D7009C 1E720552
	buffer_load_dwordx4 a[136:139], v55, s[84:87], 0 offen     // 000000004EA4: E05C1000 80958837
	v_mfma_i32_16x16x32_i8 v[156:159], a[84:85], a[4:5], v[156:159]// 000000004EAC: D3D7009C 1E720954
	v_mfma_i32_16x16x32_i8 v[156:159], a[86:87], a[6:7], v[156:159]// 000000004EB4: D3D7009C 1E720D56
	ds_read_b128 a[48:51], v2 offset:17664                     // 000000004EBC: DBFE4500 30000002
	ds_read_b128 a[52:55], v2 offset:17728                     // 000000004EC4: DBFE4540 34000002
	v_mfma_i32_16x16x32_i8 v[172:175], a[88:89], a[0:1], v[172:175]// 000000004ECC: D3D700AC 1EB20158
	v_mfma_i32_16x16x32_i8 v[172:175], a[90:91], a[2:3], v[172:175]// 000000004ED4: D3D700AC 1EB2055A
	buffer_load_dwordx4 a[140:143], v55, s[84:87], 0 offen offset:1024// 000000004EDC: E05C1400 80958C37
	v_mfma_i32_16x16x32_i8 v[172:175], a[92:93], a[4:5], v[172:175]// 000000004EE4: D3D700AC 1EB2095C
	v_mfma_i32_16x16x32_i8 v[172:175], a[94:95], a[6:7], v[172:175]// 000000004EEC: D3D700AC 1EB20D5E
	ds_read_b128 a[56:59], v2 offset:18176                     // 000000004EF4: DBFE4700 38000002
	ds_read_b128 a[60:63], v2 offset:18240                     // 000000004EFC: DBFE4740 3C000002
	v_mfma_i32_16x16x32_i8 v[128:131], a[64:65], a[8:9], v[128:131]// 000000004F04: D3D70080 1E021140
	v_mfma_i32_16x16x32_i8 v[128:131], a[66:67], a[10:11], v[128:131]// 000000004F0C: D3D70080 1E021542
	buffer_load_dwordx4 a[144:147], v56, s[84:87], 0 offen     // 000000004F14: E05C1000 80959038
	v_mfma_i32_16x16x32_i8 v[128:131], a[68:69], a[12:13], v[128:131]// 000000004F1C: D3D70080 1E021944
	v_mfma_i32_16x16x32_i8 v[128:131], a[70:71], a[14:15], v[128:131]// 000000004F24: D3D70080 1E021D46
	v_mfma_i32_16x16x32_i8 v[144:147], a[72:73], a[8:9], v[144:147]// 000000004F2C: D3D70090 1E421148
	v_mfma_i32_16x16x32_i8 v[144:147], a[74:75], a[10:11], v[144:147]// 000000004F34: D3D70090 1E42154A
	buffer_load_dwordx4 a[148:151], v56, s[84:87], 0 offen offset:1024// 000000004F3C: E05C1400 80959438
	v_mfma_i32_16x16x32_i8 v[144:147], a[76:77], a[12:13], v[144:147]// 000000004F44: D3D70090 1E42194C
	v_mfma_i32_16x16x32_i8 v[144:147], a[78:79], a[14:15], v[144:147]// 000000004F4C: D3D70090 1E421D4E
	v_mfma_i32_16x16x32_i8 v[160:163], a[80:81], a[8:9], v[160:163]// 000000004F54: D3D700A0 1E821150
	v_mfma_i32_16x16x32_i8 v[160:163], a[82:83], a[10:11], v[160:163]// 000000004F5C: D3D700A0 1E821552
	buffer_load_dwordx4 a[152:155], v57, s[84:87], 0 offen     // 000000004F64: E05C1000 80959839
	v_mfma_i32_16x16x32_i8 v[160:163], a[84:85], a[12:13], v[160:163]// 000000004F6C: D3D700A0 1E821954
	v_mfma_i32_16x16x32_i8 v[160:163], a[86:87], a[14:15], v[160:163]// 000000004F74: D3D700A0 1E821D56
	v_mfma_i32_16x16x32_i8 v[176:179], a[88:89], a[8:9], v[176:179]// 000000004F7C: D3D700B0 1EC21158
	v_mfma_i32_16x16x32_i8 v[176:179], a[90:91], a[10:11], v[176:179]// 000000004F84: D3D700B0 1EC2155A
	buffer_load_dwordx4 a[156:159], v57, s[84:87], 0 offen offset:1024// 000000004F8C: E05C1400 80959C39
	v_mfma_i32_16x16x32_i8 v[176:179], a[92:93], a[12:13], v[176:179]// 000000004F94: D3D700B0 1EC2195C
	v_mfma_i32_16x16x32_i8 v[176:179], a[94:95], a[14:15], v[176:179]// 000000004F9C: D3D700B0 1EC21D5E
	v_mfma_i32_16x16x32_i8 v[132:135], a[64:65], a[16:17], v[132:135]// 000000004FA4: D3D70084 1E122140
	v_mfma_i32_16x16x32_i8 v[132:135], a[66:67], a[18:19], v[132:135]// 000000004FAC: D3D70084 1E122542
	v_mfma_i32_16x16x32_i8 v[132:135], a[68:69], a[20:21], v[132:135]// 000000004FB4: D3D70084 1E122944
	v_mfma_i32_16x16x32_i8 v[132:135], a[70:71], a[22:23], v[132:135]// 000000004FBC: D3D70084 1E122D46
	v_mfma_i32_16x16x32_i8 v[148:151], a[72:73], a[16:17], v[148:151]// 000000004FC4: D3D70094 1E522148
	v_mfma_i32_16x16x32_i8 v[148:151], a[74:75], a[18:19], v[148:151]// 000000004FCC: D3D70094 1E52254A
	v_mfma_i32_16x16x32_i8 v[148:151], a[76:77], a[20:21], v[148:151]// 000000004FD4: D3D70094 1E52294C
	v_mfma_i32_16x16x32_i8 v[148:151], a[78:79], a[22:23], v[148:151]// 000000004FDC: D3D70094 1E522D4E
	v_mfma_i32_16x16x32_i8 v[164:167], a[80:81], a[16:17], v[164:167]// 000000004FE4: D3D700A4 1E922150
	v_mfma_i32_16x16x32_i8 v[164:167], a[82:83], a[18:19], v[164:167]// 000000004FEC: D3D700A4 1E922552
	v_mfma_i32_16x16x32_i8 v[164:167], a[84:85], a[20:21], v[164:167]// 000000004FF4: D3D700A4 1E922954
	v_mfma_i32_16x16x32_i8 v[164:167], a[86:87], a[22:23], v[164:167]// 000000004FFC: D3D700A4 1E922D56
	v_mfma_i32_16x16x32_i8 v[180:183], a[88:89], a[16:17], v[180:183]// 000000005004: D3D700B4 1ED22158
	v_mfma_i32_16x16x32_i8 v[180:183], a[90:91], a[18:19], v[180:183]// 00000000500C: D3D700B4 1ED2255A
	v_mfma_i32_16x16x32_i8 v[180:183], a[92:93], a[20:21], v[180:183]// 000000005014: D3D700B4 1ED2295C
	v_mfma_i32_16x16x32_i8 v[180:183], a[94:95], a[22:23], v[180:183]// 00000000501C: D3D700B4 1ED22D5E
	v_mfma_i32_16x16x32_i8 v[136:139], a[64:65], a[24:25], v[136:139]// 000000005024: D3D70088 1E223140
	v_mfma_i32_16x16x32_i8 v[136:139], a[66:67], a[26:27], v[136:139]// 00000000502C: D3D70088 1E223542
	v_mfma_i32_16x16x32_i8 v[136:139], a[68:69], a[28:29], v[136:139]// 000000005034: D3D70088 1E223944
	v_mfma_i32_16x16x32_i8 v[136:139], a[70:71], a[30:31], v[136:139]// 00000000503C: D3D70088 1E223D46
	v_mfma_i32_16x16x32_i8 v[152:155], a[72:73], a[24:25], v[152:155]// 000000005044: D3D70098 1E623148
	v_mfma_i32_16x16x32_i8 v[152:155], a[74:75], a[26:27], v[152:155]// 00000000504C: D3D70098 1E62354A
	v_mfma_i32_16x16x32_i8 v[152:155], a[76:77], a[28:29], v[152:155]// 000000005054: D3D70098 1E62394C
	v_mfma_i32_16x16x32_i8 v[152:155], a[78:79], a[30:31], v[152:155]// 00000000505C: D3D70098 1E623D4E
	v_mfma_i32_16x16x32_i8 v[168:171], a[80:81], a[24:25], v[168:171]// 000000005064: D3D700A8 1EA23150
	s_add_u32 s60, 0x180, s80                                  // 00000000506C: 803C50FF 00000180
	s_cmp_lt_u32 s60, s81                                      // 000000005074: BF0A513C
	s_cselect_b32 s57, s57, 0                                  // 000000005078: 85398039
	v_mfma_i32_16x16x32_i8 v[168:171], a[82:83], a[26:27], v[168:171]// 00000000507C: D3D700A8 1EA23552
	s_add_u32 s60, 0x100, s80                                  // 000000005084: 803C50FF 00000100
	s_cmp_lt_u32 s60, s81                                      // 00000000508C: BF0A513C
	s_cselect_b32 s58, s58, 0                                  // 000000005090: 853A803A
	v_mfma_i32_16x16x32_i8 v[168:171], a[84:85], a[28:29], v[168:171]// 000000005094: D3D700A8 1EA23954
	s_add_u32 s60, 0x100, s80                                  // 00000000509C: 803C50FF 00000100
	s_cmp_lt_u32 s60, s81                                      // 0000000050A4: BF0A513C
	s_cselect_b32 s83, s83, 0                                  // 0000000050A8: 85538053
	v_mfma_i32_16x16x32_i8 v[168:171], a[86:87], a[30:31], v[168:171]// 0000000050AC: D3D700A8 1EA23D56
	s_add_u32 s24, s58, s24                                    // 0000000050B4: 8018183A
	s_addc_u32 s25, 0, s25                                     // 0000000050B8: 82191980
	v_mfma_i32_16x16x32_i8 v[184:187], a[88:89], a[24:25], v[184:187]// 0000000050BC: D3D700B8 1EE23158
	s_add_u32 s20, s57, s20                                    // 0000000050C4: 80141439
	s_addc_u32 s21, 0, s21                                     // 0000000050C8: 82151580
	v_mfma_i32_16x16x32_i8 v[184:187], a[90:91], a[26:27], v[184:187]// 0000000050CC: D3D700B8 1EE2355A
	s_add_u32 s84, s83, s84                                    // 0000000050D4: 80545453
	s_addc_u32 s85, 0, s85                                     // 0000000050D8: 82555580
	v_mfma_i32_16x16x32_i8 v[184:187], a[92:93], a[28:29], v[184:187]// 0000000050DC: D3D700B8 1EE2395C
	v_mfma_i32_16x16x32_i8 v[184:187], a[94:95], a[30:31], v[184:187]// 0000000050E4: D3D700B8 1EE23D5E
	s_addk_i32 s80, 0x80                                       // 0000000050EC: B7500080
	s_cmp_lt_i32 s80, s81                                      // 0000000050F0: BF045150
	s_cbranch_scc0 label_0B26                                  // 0000000050F4: BF840168
	s_waitcnt vmcnt(16) lgkmcnt(0)                             // 0000000050F8: BF8C4070
	v_mfma_i32_16x16x32_i8 v[60:63], a[96:97], a[32:33], v[60:63]// 0000000050FC: D3D7003C 1CF24160
	v_mfma_i32_16x16x32_i8 v[60:63], a[98:99], a[34:35], v[60:63]// 000000005104: D3D7003C 1CF24562
	buffer_load_dwordx4 a[64:67], v54, s[24:27], 0 offen       // 00000000510C: E05C1000 80864036
	v_mfma_i32_16x16x32_i8 v[60:63], a[100:101], a[36:37], v[60:63]// 000000005114: D3D7003C 1CF24964
	v_mfma_i32_16x16x32_i8 v[60:63], a[102:103], a[38:39], v[60:63]// 00000000511C: D3D7003C 1CF24D66
	v_mfma_i32_16x16x32_i8 v[76:79], a[104:105], a[32:33], v[76:79]// 000000005124: D3D7004C 1D324168
	v_mfma_i32_16x16x32_i8 v[76:79], a[106:107], a[34:35], v[76:79]// 00000000512C: D3D7004C 1D32456A
	buffer_load_dwordx4 a[68:71], v54, s[24:27], 0 offen offset:1024// 000000005134: E05C1400 80864436
	v_mfma_i32_16x16x32_i8 v[76:79], a[108:109], a[36:37], v[76:79]// 00000000513C: D3D7004C 1D32496C
	v_mfma_i32_16x16x32_i8 v[76:79], a[110:111], a[38:39], v[76:79]// 000000005144: D3D7004C 1D324D6E
	v_mfma_i32_16x16x32_i8 v[92:95], a[112:113], a[32:33], v[92:95]// 00000000514C: D3D7005C 1D724170
	v_mfma_i32_16x16x32_i8 v[92:95], a[114:115], a[34:35], v[92:95]// 000000005154: D3D7005C 1D724572
	buffer_load_dwordx4 a[72:75], v55, s[24:27], 0 offen       // 00000000515C: E05C1000 80864837
	v_mfma_i32_16x16x32_i8 v[92:95], a[116:117], a[36:37], v[92:95]// 000000005164: D3D7005C 1D724974
	v_mfma_i32_16x16x32_i8 v[92:95], a[118:119], a[38:39], v[92:95]// 00000000516C: D3D7005C 1D724D76
	v_mfma_i32_16x16x32_i8 v[108:111], a[120:121], a[32:33], v[108:111]// 000000005174: D3D7006C 1DB24178
	v_mfma_i32_16x16x32_i8 v[108:111], a[122:123], a[34:35], v[108:111]// 00000000517C: D3D7006C 1DB2457A
	buffer_load_dwordx4 a[76:79], v55, s[24:27], 0 offen offset:1024// 000000005184: E05C1400 80864C37
	v_mfma_i32_16x16x32_i8 v[108:111], a[124:125], a[36:37], v[108:111]// 00000000518C: D3D7006C 1DB2497C
	v_mfma_i32_16x16x32_i8 v[108:111], a[126:127], a[38:39], v[108:111]// 000000005194: D3D7006C 1DB24D7E
	v_mfma_i32_16x16x32_i8 v[64:67], a[96:97], a[40:41], v[64:67]// 00000000519C: D3D70040 1D025160
	v_mfma_i32_16x16x32_i8 v[64:67], a[98:99], a[42:43], v[64:67]// 0000000051A4: D3D70040 1D025562
	buffer_load_dwordx4 a[80:83], v56, s[24:27], 0 offen       // 0000000051AC: E05C1000 80865038
	v_mfma_i32_16x16x32_i8 v[64:67], a[100:101], a[44:45], v[64:67]// 0000000051B4: D3D70040 1D025964
	v_mfma_i32_16x16x32_i8 v[64:67], a[102:103], a[46:47], v[64:67]// 0000000051BC: D3D70040 1D025D66
	v_mfma_i32_16x16x32_i8 v[80:83], a[104:105], a[40:41], v[80:83]// 0000000051C4: D3D70050 1D425168
	v_mfma_i32_16x16x32_i8 v[80:83], a[106:107], a[42:43], v[80:83]// 0000000051CC: D3D70050 1D42556A
	buffer_load_dwordx4 a[84:87], v56, s[24:27], 0 offen offset:1024// 0000000051D4: E05C1400 80865438
	v_mfma_i32_16x16x32_i8 v[80:83], a[108:109], a[44:45], v[80:83]// 0000000051DC: D3D70050 1D42596C
	v_mfma_i32_16x16x32_i8 v[80:83], a[110:111], a[46:47], v[80:83]// 0000000051E4: D3D70050 1D425D6E
	v_mfma_i32_16x16x32_i8 v[96:99], a[112:113], a[40:41], v[96:99]// 0000000051EC: D3D70060 1D825170
	v_mfma_i32_16x16x32_i8 v[96:99], a[114:115], a[42:43], v[96:99]// 0000000051F4: D3D70060 1D825572
	buffer_load_dwordx4 a[88:91], v57, s[24:27], 0 offen       // 0000000051FC: E05C1000 80865839
	v_mfma_i32_16x16x32_i8 v[96:99], a[116:117], a[44:45], v[96:99]// 000000005204: D3D70060 1D825974
	v_mfma_i32_16x16x32_i8 v[96:99], a[118:119], a[46:47], v[96:99]// 00000000520C: D3D70060 1D825D76
	v_mfma_i32_16x16x32_i8 v[112:115], a[120:121], a[40:41], v[112:115]// 000000005214: D3D70070 1DC25178
	v_mfma_i32_16x16x32_i8 v[112:115], a[122:123], a[42:43], v[112:115]// 00000000521C: D3D70070 1DC2557A
	buffer_load_dwordx4 a[92:95], v57, s[24:27], 0 offen offset:1024// 000000005224: E05C1400 80865C39
	buffer_load_dword v46, s[20:23], 0 offen lds               // 00000000522C: E0511000 8005002E
	s_add_u32 m0, 0x100, s49                                   // 000000005234: 807C31FF 00000100
	v_mfma_i32_16x16x32_i8 v[112:115], a[124:125], a[44:45], v[112:115]// 00000000523C: D3D70070 1DC2597C
	v_mfma_i32_16x16x32_i8 v[112:115], a[126:127], a[46:47], v[112:115]// 000000005244: D3D70070 1DC25D7E
	buffer_load_dword v47, s[20:23], 0 offen lds               // 00000000524C: E0511000 8005002F
	s_add_u32 m0, 0x200, s49                                   // 000000005254: 807C31FF 00000200
	v_mfma_i32_16x16x32_i8 v[68:71], a[96:97], a[48:49], v[68:71]// 00000000525C: D3D70044 1D126160
	v_mfma_i32_16x16x32_i8 v[68:71], a[98:99], a[50:51], v[68:71]// 000000005264: D3D70044 1D126562
	buffer_load_dword v48, s[20:23], 0 offen lds               // 00000000526C: E0511000 80050030
	s_add_u32 m0, 0x300, s49                                   // 000000005274: 807C31FF 00000300
	v_mfma_i32_16x16x32_i8 v[68:71], a[100:101], a[52:53], v[68:71]// 00000000527C: D3D70044 1D126964
	v_mfma_i32_16x16x32_i8 v[68:71], a[102:103], a[54:55], v[68:71]// 000000005284: D3D70044 1D126D66
	buffer_load_dword v49, s[20:23], 0 offen lds               // 00000000528C: E0511000 80050031
	s_add_u32 m0, 0x400, s49                                   // 000000005294: 807C31FF 00000400
	v_mfma_i32_16x16x32_i8 v[84:87], a[104:105], a[48:49], v[84:87]// 00000000529C: D3D70054 1D526168
	v_mfma_i32_16x16x32_i8 v[84:87], a[106:107], a[50:51], v[84:87]// 0000000052A4: D3D70054 1D52656A
	buffer_load_dword v50, s[20:23], 0 offen lds               // 0000000052AC: E0511000 80050032
	s_add_u32 m0, 0x500, s49                                   // 0000000052B4: 807C31FF 00000500
	v_mfma_i32_16x16x32_i8 v[84:87], a[108:109], a[52:53], v[84:87]// 0000000052BC: D3D70054 1D52696C
	v_mfma_i32_16x16x32_i8 v[84:87], a[110:111], a[54:55], v[84:87]// 0000000052C4: D3D70054 1D526D6E
	buffer_load_dword v51, s[20:23], 0 offen lds               // 0000000052CC: E0511000 80050033
	s_add_u32 m0, 0x600, s49                                   // 0000000052D4: 807C31FF 00000600
	v_mfma_i32_16x16x32_i8 v[100:103], a[112:113], a[48:49], v[100:103]// 0000000052DC: D3D70064 1D926170
	v_mfma_i32_16x16x32_i8 v[100:103], a[114:115], a[50:51], v[100:103]// 0000000052E4: D3D70064 1D926572
	buffer_load_dword v52, s[20:23], 0 offen lds               // 0000000052EC: E0511000 80050034
	s_add_u32 m0, 0x700, s49                                   // 0000000052F4: 807C31FF 00000700
	v_mfma_i32_16x16x32_i8 v[100:103], a[116:117], a[52:53], v[100:103]// 0000000052FC: D3D70064 1D926974
	v_mfma_i32_16x16x32_i8 v[100:103], a[118:119], a[54:55], v[100:103]// 000000005304: D3D70064 1D926D76
	buffer_load_dword v53, s[20:23], 0 offen lds               // 00000000530C: E0511000 80050035
	s_add_u32 m0, 0, s50                                       // 000000005314: 807C3280
	v_mfma_i32_16x16x32_i8 v[116:119], a[120:121], a[48:49], v[116:119]// 000000005318: D3D70074 1DD26178
	v_mfma_i32_16x16x32_i8 v[116:119], a[122:123], a[50:51], v[116:119]// 000000005320: D3D70074 1DD2657A
	v_mfma_i32_16x16x32_i8 v[116:119], a[124:125], a[52:53], v[116:119]// 000000005328: D3D70074 1DD2697C
	v_mfma_i32_16x16x32_i8 v[116:119], a[126:127], a[54:55], v[116:119]// 000000005330: D3D70074 1DD26D7E
	v_mfma_i32_16x16x32_i8 v[72:75], a[96:97], a[56:57], v[72:75]// 000000005338: D3D70048 1D227160
	v_mfma_i32_16x16x32_i8 v[72:75], a[98:99], a[58:59], v[72:75]// 000000005340: D3D70048 1D227562
	v_mfma_i32_16x16x32_i8 v[72:75], a[100:101], a[60:61], v[72:75]// 000000005348: D3D70048 1D227964
	v_mfma_i32_16x16x32_i8 v[72:75], a[102:103], a[62:63], v[72:75]// 000000005350: D3D70048 1D227D66
	v_mfma_i32_16x16x32_i8 v[88:91], a[104:105], a[56:57], v[88:91]// 000000005358: D3D70058 1D627168
	v_mfma_i32_16x16x32_i8 v[88:91], a[106:107], a[58:59], v[88:91]// 000000005360: D3D70058 1D62756A
	v_mfma_i32_16x16x32_i8 v[88:91], a[108:109], a[60:61], v[88:91]// 000000005368: D3D70058 1D62796C
	v_mfma_i32_16x16x32_i8 v[88:91], a[110:111], a[62:63], v[88:91]// 000000005370: D3D70058 1D627D6E
	v_mfma_i32_16x16x32_i8 v[104:107], a[112:113], a[56:57], v[104:107]// 000000005378: D3D70068 1DA27170
	v_mfma_i32_16x16x32_i8 v[104:107], a[114:115], a[58:59], v[104:107]// 000000005380: D3D70068 1DA27572
	v_mfma_i32_16x16x32_i8 v[104:107], a[116:117], a[60:61], v[104:107]// 000000005388: D3D70068 1DA27974
	v_mfma_i32_16x16x32_i8 v[104:107], a[118:119], a[62:63], v[104:107]// 000000005390: D3D70068 1DA27D76
	v_mfma_i32_16x16x32_i8 v[120:123], a[120:121], a[56:57], v[120:123]// 000000005398: D3D70078 1DE27178
	v_mfma_i32_16x16x32_i8 v[120:123], a[122:123], a[58:59], v[120:123]// 0000000053A0: D3D70078 1DE2757A
	v_mfma_i32_16x16x32_i8 v[120:123], a[124:125], a[60:61], v[120:123]// 0000000053A8: D3D70078 1DE2797C
	v_mfma_i32_16x16x32_i8 v[120:123], a[126:127], a[62:63], v[120:123]// 0000000053B0: D3D70078 1DE27D7E
	s_waitcnt vmcnt(16)                                        // 0000000053B8: BF8C4F70
	s_barrier                                                  // 0000000053BC: BF8A0000
	v_mfma_i32_16x16x32_i8 v[124:127], a[128:129], a[32:33], v[124:127]// 0000000053C0: D3D7007C 1DF24180
	v_mfma_i32_16x16x32_i8 v[124:127], a[130:131], a[34:35], v[124:127]// 0000000053C8: D3D7007C 1DF24582
	buffer_load_dwordx4 a[96:99], v54, s[84:87], 0 offen       // 0000000053D0: E05C1000 80956036
	v_mfma_i32_16x16x32_i8 v[124:127], a[132:133], a[36:37], v[124:127]// 0000000053D8: D3D7007C 1DF24984
	v_mfma_i32_16x16x32_i8 v[124:127], a[134:135], a[38:39], v[124:127]// 0000000053E0: D3D7007C 1DF24D86
	ds_read_b128 a[0:3], v2                                    // 0000000053E8: DBFE0000 00000002
	ds_read_b128 a[4:7], v2 offset:64                          // 0000000053F0: DBFE0040 04000002
	v_mfma_i32_16x16x32_i8 v[140:143], a[136:137], a[32:33], v[140:143]// 0000000053F8: D3D7008C 1E324188
	v_mfma_i32_16x16x32_i8 v[140:143], a[138:139], a[34:35], v[140:143]// 000000005400: D3D7008C 1E32458A
	buffer_load_dwordx4 a[100:103], v54, s[84:87], 0 offen offset:1024// 000000005408: E05C1400 80956436
	v_mfma_i32_16x16x32_i8 v[140:143], a[140:141], a[36:37], v[140:143]// 000000005410: D3D7008C 1E32498C
	v_mfma_i32_16x16x32_i8 v[140:143], a[142:143], a[38:39], v[140:143]// 000000005418: D3D7008C 1E324D8E
	ds_read_b128 a[8:11], v2 offset:512                        // 000000005420: DBFE0200 08000002
	ds_read_b128 a[12:15], v2 offset:576                       // 000000005428: DBFE0240 0C000002
	v_mfma_i32_16x16x32_i8 v[156:159], a[144:145], a[32:33], v[156:159]// 000000005430: D3D7009C 1E724190
	v_mfma_i32_16x16x32_i8 v[156:159], a[146:147], a[34:35], v[156:159]// 000000005438: D3D7009C 1E724592
	buffer_load_dwordx4 a[104:107], v55, s[84:87], 0 offen     // 000000005440: E05C1000 80956837
	v_mfma_i32_16x16x32_i8 v[156:159], a[148:149], a[36:37], v[156:159]// 000000005448: D3D7009C 1E724994
	v_mfma_i32_16x16x32_i8 v[156:159], a[150:151], a[38:39], v[156:159]// 000000005450: D3D7009C 1E724D96
	ds_read_b128 a[16:19], v2 offset:1024                      // 000000005458: DBFE0400 10000002
	ds_read_b128 a[20:23], v2 offset:1088                      // 000000005460: DBFE0440 14000002
	v_mfma_i32_16x16x32_i8 v[172:175], a[152:153], a[32:33], v[172:175]// 000000005468: D3D700AC 1EB24198
	v_mfma_i32_16x16x32_i8 v[172:175], a[154:155], a[34:35], v[172:175]// 000000005470: D3D700AC 1EB2459A
	buffer_load_dwordx4 a[108:111], v55, s[84:87], 0 offen offset:1024// 000000005478: E05C1400 80956C37
	v_mfma_i32_16x16x32_i8 v[172:175], a[156:157], a[36:37], v[172:175]// 000000005480: D3D700AC 1EB2499C
	v_mfma_i32_16x16x32_i8 v[172:175], a[158:159], a[38:39], v[172:175]// 000000005488: D3D700AC 1EB24D9E
	ds_read_b128 a[24:27], v2 offset:1536                      // 000000005490: DBFE0600 18000002
	ds_read_b128 a[28:31], v2 offset:1600                      // 000000005498: DBFE0640 1C000002
	v_mfma_i32_16x16x32_i8 v[128:131], a[128:129], a[40:41], v[128:131]// 0000000054A0: D3D70080 1E025180
	v_mfma_i32_16x16x32_i8 v[128:131], a[130:131], a[42:43], v[128:131]// 0000000054A8: D3D70080 1E025582
	buffer_load_dwordx4 a[112:115], v56, s[84:87], 0 offen     // 0000000054B0: E05C1000 80957038
	v_mfma_i32_16x16x32_i8 v[128:131], a[132:133], a[44:45], v[128:131]// 0000000054B8: D3D70080 1E025984
	v_mfma_i32_16x16x32_i8 v[128:131], a[134:135], a[46:47], v[128:131]// 0000000054C0: D3D70080 1E025D86
	v_mfma_i32_16x16x32_i8 v[144:147], a[136:137], a[40:41], v[144:147]// 0000000054C8: D3D70090 1E425188
	v_mfma_i32_16x16x32_i8 v[144:147], a[138:139], a[42:43], v[144:147]// 0000000054D0: D3D70090 1E42558A
	buffer_load_dwordx4 a[116:119], v56, s[84:87], 0 offen offset:1024// 0000000054D8: E05C1400 80957438
	v_mfma_i32_16x16x32_i8 v[144:147], a[140:141], a[44:45], v[144:147]// 0000000054E0: D3D70090 1E42598C
	v_mfma_i32_16x16x32_i8 v[144:147], a[142:143], a[46:47], v[144:147]// 0000000054E8: D3D70090 1E425D8E
	v_mfma_i32_16x16x32_i8 v[160:163], a[144:145], a[40:41], v[160:163]// 0000000054F0: D3D700A0 1E825190
	v_mfma_i32_16x16x32_i8 v[160:163], a[146:147], a[42:43], v[160:163]// 0000000054F8: D3D700A0 1E825592
	buffer_load_dwordx4 a[120:123], v57, s[84:87], 0 offen     // 000000005500: E05C1000 80957839
	v_mfma_i32_16x16x32_i8 v[160:163], a[148:149], a[44:45], v[160:163]// 000000005508: D3D700A0 1E825994
	v_mfma_i32_16x16x32_i8 v[160:163], a[150:151], a[46:47], v[160:163]// 000000005510: D3D700A0 1E825D96
	v_mfma_i32_16x16x32_i8 v[176:179], a[152:153], a[40:41], v[176:179]// 000000005518: D3D700B0 1EC25198
	v_mfma_i32_16x16x32_i8 v[176:179], a[154:155], a[42:43], v[176:179]// 000000005520: D3D700B0 1EC2559A
	buffer_load_dwordx4 a[124:127], v57, s[84:87], 0 offen offset:1024// 000000005528: E05C1400 80957C39
	v_mfma_i32_16x16x32_i8 v[176:179], a[156:157], a[44:45], v[176:179]// 000000005530: D3D700B0 1EC2599C
	v_mfma_i32_16x16x32_i8 v[176:179], a[158:159], a[46:47], v[176:179]// 000000005538: D3D700B0 1EC25D9E
	v_mfma_i32_16x16x32_i8 v[132:135], a[128:129], a[48:49], v[132:135]// 000000005540: D3D70084 1E126180
	v_mfma_i32_16x16x32_i8 v[132:135], a[130:131], a[50:51], v[132:135]// 000000005548: D3D70084 1E126582
	v_mfma_i32_16x16x32_i8 v[132:135], a[132:133], a[52:53], v[132:135]// 000000005550: D3D70084 1E126984
	v_mfma_i32_16x16x32_i8 v[132:135], a[134:135], a[54:55], v[132:135]// 000000005558: D3D70084 1E126D86
	v_mfma_i32_16x16x32_i8 v[148:151], a[136:137], a[48:49], v[148:151]// 000000005560: D3D70094 1E526188
	v_mfma_i32_16x16x32_i8 v[148:151], a[138:139], a[50:51], v[148:151]// 000000005568: D3D70094 1E52658A
	v_mfma_i32_16x16x32_i8 v[148:151], a[140:141], a[52:53], v[148:151]// 000000005570: D3D70094 1E52698C
	v_mfma_i32_16x16x32_i8 v[148:151], a[142:143], a[54:55], v[148:151]// 000000005578: D3D70094 1E526D8E
	v_mfma_i32_16x16x32_i8 v[164:167], a[144:145], a[48:49], v[164:167]// 000000005580: D3D700A4 1E926190
	v_mfma_i32_16x16x32_i8 v[164:167], a[146:147], a[50:51], v[164:167]// 000000005588: D3D700A4 1E926592
	v_mfma_i32_16x16x32_i8 v[164:167], a[148:149], a[52:53], v[164:167]// 000000005590: D3D700A4 1E926994
	v_mfma_i32_16x16x32_i8 v[164:167], a[150:151], a[54:55], v[164:167]// 000000005598: D3D700A4 1E926D96
	v_mfma_i32_16x16x32_i8 v[180:183], a[152:153], a[48:49], v[180:183]// 0000000055A0: D3D700B4 1ED26198
	v_mfma_i32_16x16x32_i8 v[180:183], a[154:155], a[50:51], v[180:183]// 0000000055A8: D3D700B4 1ED2659A
	v_mfma_i32_16x16x32_i8 v[180:183], a[156:157], a[52:53], v[180:183]// 0000000055B0: D3D700B4 1ED2699C
	v_mfma_i32_16x16x32_i8 v[180:183], a[158:159], a[54:55], v[180:183]// 0000000055B8: D3D700B4 1ED26D9E
	v_mfma_i32_16x16x32_i8 v[136:139], a[128:129], a[56:57], v[136:139]// 0000000055C0: D3D70088 1E227180
	v_mfma_i32_16x16x32_i8 v[136:139], a[130:131], a[58:59], v[136:139]// 0000000055C8: D3D70088 1E227582
	v_mfma_i32_16x16x32_i8 v[136:139], a[132:133], a[60:61], v[136:139]// 0000000055D0: D3D70088 1E227984
	v_mfma_i32_16x16x32_i8 v[136:139], a[134:135], a[62:63], v[136:139]// 0000000055D8: D3D70088 1E227D86
	v_mfma_i32_16x16x32_i8 v[152:155], a[136:137], a[56:57], v[152:155]// 0000000055E0: D3D70098 1E627188
	v_mfma_i32_16x16x32_i8 v[152:155], a[138:139], a[58:59], v[152:155]// 0000000055E8: D3D70098 1E62758A
	v_mfma_i32_16x16x32_i8 v[152:155], a[140:141], a[60:61], v[152:155]// 0000000055F0: D3D70098 1E62798C
	v_mfma_i32_16x16x32_i8 v[152:155], a[142:143], a[62:63], v[152:155]// 0000000055F8: D3D70098 1E627D8E
	v_mfma_i32_16x16x32_i8 v[168:171], a[144:145], a[56:57], v[168:171]// 000000005600: D3D700A8 1EA27190
	s_add_u32 s60, 0x180, s80                                  // 000000005608: 803C50FF 00000180
	s_cmp_lt_u32 s60, s81                                      // 000000005610: BF0A513C
	s_cselect_b32 s57, s57, 0                                  // 000000005614: 85398039
	v_mfma_i32_16x16x32_i8 v[168:171], a[146:147], a[58:59], v[168:171]// 000000005618: D3D700A8 1EA27592
	s_add_u32 s60, 0x100, s80                                  // 000000005620: 803C50FF 00000100
	s_cmp_lt_u32 s60, s81                                      // 000000005628: BF0A513C
	s_cselect_b32 s58, s58, 0                                  // 00000000562C: 853A803A
	v_mfma_i32_16x16x32_i8 v[168:171], a[148:149], a[60:61], v[168:171]// 000000005630: D3D700A8 1EA27994
	s_add_u32 s60, 0x100, s80                                  // 000000005638: 803C50FF 00000100
	s_cmp_lt_u32 s60, s81                                      // 000000005640: BF0A513C
	s_cselect_b32 s83, s83, 0                                  // 000000005644: 85538053
	v_mfma_i32_16x16x32_i8 v[168:171], a[150:151], a[62:63], v[168:171]// 000000005648: D3D700A8 1EA27D96
	s_add_u32 s24, s58, s24                                    // 000000005650: 8018183A
	s_addc_u32 s25, 0, s25                                     // 000000005654: 82191980
	v_mfma_i32_16x16x32_i8 v[184:187], a[152:153], a[56:57], v[184:187]// 000000005658: D3D700B8 1EE27198
	s_add_u32 s20, s57, s20                                    // 000000005660: 80141439
	s_addc_u32 s21, 0, s21                                     // 000000005664: 82151580
	v_mfma_i32_16x16x32_i8 v[184:187], a[154:155], a[58:59], v[184:187]// 000000005668: D3D700B8 1EE2759A
	s_add_u32 s84, s83, s84                                    // 000000005670: 80545453
	s_addc_u32 s85, 0, s85                                     // 000000005674: 82555580
	v_mfma_i32_16x16x32_i8 v[184:187], a[156:157], a[60:61], v[184:187]// 000000005678: D3D700B8 1EE2799C
	v_mfma_i32_16x16x32_i8 v[184:187], a[158:159], a[62:63], v[184:187]// 000000005680: D3D700B8 1EE27D9E
	s_addk_i32 s80, 0x80                                       // 000000005688: B7500080
	s_cmp_lt_i32 s80, s81                                      // 00000000568C: BF045150
	s_cbranch_scc0 label_0B26                                  // 000000005690: BF840001
	s_branch label_02BB                                        // 000000005694: BF82F795

0000000000005698 <label_0B26>:
	v_cvt_f32_i32_e32 v60, v60                                 // 000000005698: 7E780B3C
	v_cvt_f32_i32_e32 v61, v61                                 // 00000000569C: 7E7A0B3D
	v_cvt_f32_i32_e32 v62, v62                                 // 0000000056A0: 7E7C0B3E
	v_cvt_f32_i32_e32 v63, v63                                 // 0000000056A4: 7E7E0B3F
	v_mul_f32_dpp v60, v24, v60 row_newbcast:0 row_mask:0xf bank_mask:0xf// 0000000056A8: 0A7878FA FF015018
	v_mul_f32_dpp v61, v24, v61 row_newbcast:1 row_mask:0xf bank_mask:0xf// 0000000056B0: 0A7A7AFA FF015118
	v_mul_f32_dpp v62, v24, v62 row_newbcast:2 row_mask:0xf bank_mask:0xf// 0000000056B8: 0A7C7CFA FF015218
	v_mul_f32_dpp v63, v24, v63 row_newbcast:3 row_mask:0xf bank_mask:0xf// 0000000056C0: 0A7E7EFA FF015318
	v_cvt_f32_i32_e32 v64, v64                                 // 0000000056C8: 7E800B40
	v_cvt_f32_i32_e32 v65, v65                                 // 0000000056CC: 7E820B41
	v_cvt_f32_i32_e32 v66, v66                                 // 0000000056D0: 7E840B42
	v_cvt_f32_i32_e32 v67, v67                                 // 0000000056D4: 7E860B43
	v_mul_f32_dpp v64, v24, v64 row_newbcast:0 row_mask:0xf bank_mask:0xf// 0000000056D8: 0A8080FA FF015018
	v_mul_f32_dpp v65, v24, v65 row_newbcast:1 row_mask:0xf bank_mask:0xf// 0000000056E0: 0A8282FA FF015118
	v_mul_f32_dpp v66, v24, v66 row_newbcast:2 row_mask:0xf bank_mask:0xf// 0000000056E8: 0A8484FA FF015218
	v_mul_f32_dpp v67, v24, v67 row_newbcast:3 row_mask:0xf bank_mask:0xf// 0000000056F0: 0A8686FA FF015318
	v_cvt_f32_i32_e32 v68, v68                                 // 0000000056F8: 7E880B44
	v_cvt_f32_i32_e32 v69, v69                                 // 0000000056FC: 7E8A0B45
	v_cvt_f32_i32_e32 v70, v70                                 // 000000005700: 7E8C0B46
	v_cvt_f32_i32_e32 v71, v71                                 // 000000005704: 7E8E0B47
	v_mul_f32_dpp v68, v24, v68 row_newbcast:0 row_mask:0xf bank_mask:0xf// 000000005708: 0A8888FA FF015018
	v_mul_f32_dpp v69, v24, v69 row_newbcast:1 row_mask:0xf bank_mask:0xf// 000000005710: 0A8A8AFA FF015118
	v_mul_f32_dpp v70, v24, v70 row_newbcast:2 row_mask:0xf bank_mask:0xf// 000000005718: 0A8C8CFA FF015218
	v_mul_f32_dpp v71, v24, v71 row_newbcast:3 row_mask:0xf bank_mask:0xf// 000000005720: 0A8E8EFA FF015318
	v_cvt_f32_i32_e32 v72, v72                                 // 000000005728: 7E900B48
	v_cvt_f32_i32_e32 v73, v73                                 // 00000000572C: 7E920B49
	v_cvt_f32_i32_e32 v74, v74                                 // 000000005730: 7E940B4A
	v_cvt_f32_i32_e32 v75, v75                                 // 000000005734: 7E960B4B
	v_mul_f32_dpp v72, v24, v72 row_newbcast:0 row_mask:0xf bank_mask:0xf// 000000005738: 0A9090FA FF015018
	v_mul_f32_dpp v73, v24, v73 row_newbcast:1 row_mask:0xf bank_mask:0xf// 000000005740: 0A9292FA FF015118
	v_mul_f32_dpp v74, v24, v74 row_newbcast:2 row_mask:0xf bank_mask:0xf// 000000005748: 0A9494FA FF015218
	v_mul_f32_dpp v75, v24, v75 row_newbcast:3 row_mask:0xf bank_mask:0xf// 000000005750: 0A9696FA FF015318
	v_cvt_f32_i32_e32 v76, v76                                 // 000000005758: 7E980B4C
	v_cvt_f32_i32_e32 v77, v77                                 // 00000000575C: 7E9A0B4D
	v_cvt_f32_i32_e32 v78, v78                                 // 000000005760: 7E9C0B4E
	v_cvt_f32_i32_e32 v79, v79                                 // 000000005764: 7E9E0B4F
	v_mul_f32_dpp v76, v24, v76 row_newbcast:4 row_mask:0xf bank_mask:0xf// 000000005768: 0A9898FA FF015418
	v_mul_f32_dpp v77, v24, v77 row_newbcast:5 row_mask:0xf bank_mask:0xf// 000000005770: 0A9A9AFA FF015518
	v_mul_f32_dpp v78, v24, v78 row_newbcast:6 row_mask:0xf bank_mask:0xf// 000000005778: 0A9C9CFA FF015618
	v_mul_f32_dpp v79, v24, v79 row_newbcast:7 row_mask:0xf bank_mask:0xf// 000000005780: 0A9E9EFA FF015718
	v_cvt_f32_i32_e32 v80, v80                                 // 000000005788: 7EA00B50
	v_cvt_f32_i32_e32 v81, v81                                 // 00000000578C: 7EA20B51
	v_cvt_f32_i32_e32 v82, v82                                 // 000000005790: 7EA40B52
	v_cvt_f32_i32_e32 v83, v83                                 // 000000005794: 7EA60B53
	v_mul_f32_dpp v80, v24, v80 row_newbcast:4 row_mask:0xf bank_mask:0xf// 000000005798: 0AA0A0FA FF015418
	v_mul_f32_dpp v81, v24, v81 row_newbcast:5 row_mask:0xf bank_mask:0xf// 0000000057A0: 0AA2A2FA FF015518
	v_mul_f32_dpp v82, v24, v82 row_newbcast:6 row_mask:0xf bank_mask:0xf// 0000000057A8: 0AA4A4FA FF015618
	v_mul_f32_dpp v83, v24, v83 row_newbcast:7 row_mask:0xf bank_mask:0xf// 0000000057B0: 0AA6A6FA FF015718
	v_cvt_f32_i32_e32 v84, v84                                 // 0000000057B8: 7EA80B54
	v_cvt_f32_i32_e32 v85, v85                                 // 0000000057BC: 7EAA0B55
	v_cvt_f32_i32_e32 v86, v86                                 // 0000000057C0: 7EAC0B56
	v_cvt_f32_i32_e32 v87, v87                                 // 0000000057C4: 7EAE0B57
	v_mul_f32_dpp v84, v24, v84 row_newbcast:4 row_mask:0xf bank_mask:0xf// 0000000057C8: 0AA8A8FA FF015418
	v_mul_f32_dpp v85, v24, v85 row_newbcast:5 row_mask:0xf bank_mask:0xf// 0000000057D0: 0AAAAAFA FF015518
	v_mul_f32_dpp v86, v24, v86 row_newbcast:6 row_mask:0xf bank_mask:0xf// 0000000057D8: 0AACACFA FF015618
	v_mul_f32_dpp v87, v24, v87 row_newbcast:7 row_mask:0xf bank_mask:0xf// 0000000057E0: 0AAEAEFA FF015718
	v_cvt_f32_i32_e32 v88, v88                                 // 0000000057E8: 7EB00B58
	v_cvt_f32_i32_e32 v89, v89                                 // 0000000057EC: 7EB20B59
	v_cvt_f32_i32_e32 v90, v90                                 // 0000000057F0: 7EB40B5A
	v_cvt_f32_i32_e32 v91, v91                                 // 0000000057F4: 7EB60B5B
	v_mul_f32_dpp v88, v24, v88 row_newbcast:4 row_mask:0xf bank_mask:0xf// 0000000057F8: 0AB0B0FA FF015418
	v_mul_f32_dpp v89, v24, v89 row_newbcast:5 row_mask:0xf bank_mask:0xf// 000000005800: 0AB2B2FA FF015518
	v_mul_f32_dpp v90, v24, v90 row_newbcast:6 row_mask:0xf bank_mask:0xf// 000000005808: 0AB4B4FA FF015618
	v_mul_f32_dpp v91, v24, v91 row_newbcast:7 row_mask:0xf bank_mask:0xf// 000000005810: 0AB6B6FA FF015718
	v_cvt_f32_i32_e32 v92, v92                                 // 000000005818: 7EB80B5C
	v_cvt_f32_i32_e32 v93, v93                                 // 00000000581C: 7EBA0B5D
	v_cvt_f32_i32_e32 v94, v94                                 // 000000005820: 7EBC0B5E
	v_cvt_f32_i32_e32 v95, v95                                 // 000000005824: 7EBE0B5F
	v_mul_f32_dpp v92, v24, v92 row_newbcast:8 row_mask:0xf bank_mask:0xf// 000000005828: 0AB8B8FA FF015818
	v_mul_f32_dpp v93, v24, v93 row_newbcast:9 row_mask:0xf bank_mask:0xf// 000000005830: 0ABABAFA FF015918
	v_mul_f32_dpp v94, v24, v94 row_newbcast:10 row_mask:0xf bank_mask:0xf// 000000005838: 0ABCBCFA FF015A18
	v_mul_f32_dpp v95, v24, v95 row_newbcast:11 row_mask:0xf bank_mask:0xf// 000000005840: 0ABEBEFA FF015B18
	v_cvt_f32_i32_e32 v96, v96                                 // 000000005848: 7EC00B60
	v_cvt_f32_i32_e32 v97, v97                                 // 00000000584C: 7EC20B61
	v_cvt_f32_i32_e32 v98, v98                                 // 000000005850: 7EC40B62
	v_cvt_f32_i32_e32 v99, v99                                 // 000000005854: 7EC60B63
	v_mul_f32_dpp v96, v24, v96 row_newbcast:8 row_mask:0xf bank_mask:0xf// 000000005858: 0AC0C0FA FF015818
	v_mul_f32_dpp v97, v24, v97 row_newbcast:9 row_mask:0xf bank_mask:0xf// 000000005860: 0AC2C2FA FF015918
	v_mul_f32_dpp v98, v24, v98 row_newbcast:10 row_mask:0xf bank_mask:0xf// 000000005868: 0AC4C4FA FF015A18
	v_mul_f32_dpp v99, v24, v99 row_newbcast:11 row_mask:0xf bank_mask:0xf// 000000005870: 0AC6C6FA FF015B18
	v_cvt_f32_i32_e32 v100, v100                               // 000000005878: 7EC80B64
	v_cvt_f32_i32_e32 v101, v101                               // 00000000587C: 7ECA0B65
	v_cvt_f32_i32_e32 v102, v102                               // 000000005880: 7ECC0B66
	v_cvt_f32_i32_e32 v103, v103                               // 000000005884: 7ECE0B67
	v_mul_f32_dpp v100, v24, v100 row_newbcast:8 row_mask:0xf bank_mask:0xf// 000000005888: 0AC8C8FA FF015818
	v_mul_f32_dpp v101, v24, v101 row_newbcast:9 row_mask:0xf bank_mask:0xf// 000000005890: 0ACACAFA FF015918
	v_mul_f32_dpp v102, v24, v102 row_newbcast:10 row_mask:0xf bank_mask:0xf// 000000005898: 0ACCCCFA FF015A18
	v_mul_f32_dpp v103, v24, v103 row_newbcast:11 row_mask:0xf bank_mask:0xf// 0000000058A0: 0ACECEFA FF015B18
	v_cvt_f32_i32_e32 v104, v104                               // 0000000058A8: 7ED00B68
	v_cvt_f32_i32_e32 v105, v105                               // 0000000058AC: 7ED20B69
	v_cvt_f32_i32_e32 v106, v106                               // 0000000058B0: 7ED40B6A
	v_cvt_f32_i32_e32 v107, v107                               // 0000000058B4: 7ED60B6B
	v_mul_f32_dpp v104, v24, v104 row_newbcast:8 row_mask:0xf bank_mask:0xf// 0000000058B8: 0AD0D0FA FF015818
	v_mul_f32_dpp v105, v24, v105 row_newbcast:9 row_mask:0xf bank_mask:0xf// 0000000058C0: 0AD2D2FA FF015918
	v_mul_f32_dpp v106, v24, v106 row_newbcast:10 row_mask:0xf bank_mask:0xf// 0000000058C8: 0AD4D4FA FF015A18
	v_mul_f32_dpp v107, v24, v107 row_newbcast:11 row_mask:0xf bank_mask:0xf// 0000000058D0: 0AD6D6FA FF015B18
	v_cvt_f32_i32_e32 v108, v108                               // 0000000058D8: 7ED80B6C
	v_cvt_f32_i32_e32 v109, v109                               // 0000000058DC: 7EDA0B6D
	v_cvt_f32_i32_e32 v110, v110                               // 0000000058E0: 7EDC0B6E
	v_cvt_f32_i32_e32 v111, v111                               // 0000000058E4: 7EDE0B6F
	v_mul_f32_dpp v108, v24, v108 row_newbcast:12 row_mask:0xf bank_mask:0xf// 0000000058E8: 0AD8D8FA FF015C18
	v_mul_f32_dpp v109, v24, v109 row_newbcast:13 row_mask:0xf bank_mask:0xf// 0000000058F0: 0ADADAFA FF015D18
	v_mul_f32_dpp v110, v24, v110 row_newbcast:14 row_mask:0xf bank_mask:0xf// 0000000058F8: 0ADCDCFA FF015E18
	v_mul_f32_dpp v111, v24, v111 row_newbcast:15 row_mask:0xf bank_mask:0xf// 000000005900: 0ADEDEFA FF015F18
	v_cvt_f32_i32_e32 v112, v112                               // 000000005908: 7EE00B70
	v_cvt_f32_i32_e32 v113, v113                               // 00000000590C: 7EE20B71
	v_cvt_f32_i32_e32 v114, v114                               // 000000005910: 7EE40B72
	v_cvt_f32_i32_e32 v115, v115                               // 000000005914: 7EE60B73
	v_mul_f32_dpp v112, v24, v112 row_newbcast:12 row_mask:0xf bank_mask:0xf// 000000005918: 0AE0E0FA FF015C18
	v_mul_f32_dpp v113, v24, v113 row_newbcast:13 row_mask:0xf bank_mask:0xf// 000000005920: 0AE2E2FA FF015D18
	v_mul_f32_dpp v114, v24, v114 row_newbcast:14 row_mask:0xf bank_mask:0xf// 000000005928: 0AE4E4FA FF015E18
	v_mul_f32_dpp v115, v24, v115 row_newbcast:15 row_mask:0xf bank_mask:0xf// 000000005930: 0AE6E6FA FF015F18
	v_cvt_f32_i32_e32 v116, v116                               // 000000005938: 7EE80B74
	v_cvt_f32_i32_e32 v117, v117                               // 00000000593C: 7EEA0B75
	v_cvt_f32_i32_e32 v118, v118                               // 000000005940: 7EEC0B76
	v_cvt_f32_i32_e32 v119, v119                               // 000000005944: 7EEE0B77
	v_mul_f32_dpp v116, v24, v116 row_newbcast:12 row_mask:0xf bank_mask:0xf// 000000005948: 0AE8E8FA FF015C18
	v_mul_f32_dpp v117, v24, v117 row_newbcast:13 row_mask:0xf bank_mask:0xf// 000000005950: 0AEAEAFA FF015D18
	v_mul_f32_dpp v118, v24, v118 row_newbcast:14 row_mask:0xf bank_mask:0xf// 000000005958: 0AECECFA FF015E18
	v_mul_f32_dpp v119, v24, v119 row_newbcast:15 row_mask:0xf bank_mask:0xf// 000000005960: 0AEEEEFA FF015F18
	v_cvt_f32_i32_e32 v120, v120                               // 000000005968: 7EF00B78
	v_cvt_f32_i32_e32 v121, v121                               // 00000000596C: 7EF20B79
	v_cvt_f32_i32_e32 v122, v122                               // 000000005970: 7EF40B7A
	v_cvt_f32_i32_e32 v123, v123                               // 000000005974: 7EF60B7B
	v_mul_f32_dpp v120, v24, v120 row_newbcast:12 row_mask:0xf bank_mask:0xf// 000000005978: 0AF0F0FA FF015C18
	v_mul_f32_dpp v121, v24, v121 row_newbcast:13 row_mask:0xf bank_mask:0xf// 000000005980: 0AF2F2FA FF015D18
	v_mul_f32_dpp v122, v24, v122 row_newbcast:14 row_mask:0xf bank_mask:0xf// 000000005988: 0AF4F4FA FF015E18
	v_mul_f32_dpp v123, v24, v123 row_newbcast:15 row_mask:0xf bank_mask:0xf// 000000005990: 0AF6F6FA FF015F18
	v_cvt_f32_i32_e32 v124, v124                               // 000000005998: 7EF80B7C
	v_cvt_f32_i32_e32 v125, v125                               // 00000000599C: 7EFA0B7D
	v_cvt_f32_i32_e32 v126, v126                               // 0000000059A0: 7EFC0B7E
	v_cvt_f32_i32_e32 v127, v127                               // 0000000059A4: 7EFE0B7F
	v_mul_f32_dpp v124, v27, v124 row_newbcast:0 row_mask:0xf bank_mask:0xf// 0000000059A8: 0AF8F8FA FF01501B
	v_mul_f32_dpp v125, v27, v125 row_newbcast:1 row_mask:0xf bank_mask:0xf// 0000000059B0: 0AFAFAFA FF01511B
	v_mul_f32_dpp v126, v27, v126 row_newbcast:2 row_mask:0xf bank_mask:0xf// 0000000059B8: 0AFCFCFA FF01521B
	v_mul_f32_dpp v127, v27, v127 row_newbcast:3 row_mask:0xf bank_mask:0xf// 0000000059C0: 0AFEFEFA FF01531B
	v_cvt_f32_i32_e32 v128, v128                               // 0000000059C8: 7F000B80
	v_cvt_f32_i32_e32 v129, v129                               // 0000000059CC: 7F020B81
	v_cvt_f32_i32_e32 v130, v130                               // 0000000059D0: 7F040B82
	v_cvt_f32_i32_e32 v131, v131                               // 0000000059D4: 7F060B83
	v_mul_f32_dpp v128, v27, v128 row_newbcast:0 row_mask:0xf bank_mask:0xf// 0000000059D8: 0B0100FA FF01501B
	v_mul_f32_dpp v129, v27, v129 row_newbcast:1 row_mask:0xf bank_mask:0xf// 0000000059E0: 0B0302FA FF01511B
	v_mul_f32_dpp v130, v27, v130 row_newbcast:2 row_mask:0xf bank_mask:0xf// 0000000059E8: 0B0504FA FF01521B
	v_mul_f32_dpp v131, v27, v131 row_newbcast:3 row_mask:0xf bank_mask:0xf// 0000000059F0: 0B0706FA FF01531B
	v_cvt_f32_i32_e32 v132, v132                               // 0000000059F8: 7F080B84
	v_cvt_f32_i32_e32 v133, v133                               // 0000000059FC: 7F0A0B85
	v_cvt_f32_i32_e32 v134, v134                               // 000000005A00: 7F0C0B86
	v_cvt_f32_i32_e32 v135, v135                               // 000000005A04: 7F0E0B87
	v_mul_f32_dpp v132, v27, v132 row_newbcast:0 row_mask:0xf bank_mask:0xf// 000000005A08: 0B0908FA FF01501B
	v_mul_f32_dpp v133, v27, v133 row_newbcast:1 row_mask:0xf bank_mask:0xf// 000000005A10: 0B0B0AFA FF01511B
	v_mul_f32_dpp v134, v27, v134 row_newbcast:2 row_mask:0xf bank_mask:0xf// 000000005A18: 0B0D0CFA FF01521B
	v_mul_f32_dpp v135, v27, v135 row_newbcast:3 row_mask:0xf bank_mask:0xf// 000000005A20: 0B0F0EFA FF01531B
	v_cvt_f32_i32_e32 v136, v136                               // 000000005A28: 7F100B88
	v_cvt_f32_i32_e32 v137, v137                               // 000000005A2C: 7F120B89
	v_cvt_f32_i32_e32 v138, v138                               // 000000005A30: 7F140B8A
	v_cvt_f32_i32_e32 v139, v139                               // 000000005A34: 7F160B8B
	v_mul_f32_dpp v136, v27, v136 row_newbcast:0 row_mask:0xf bank_mask:0xf// 000000005A38: 0B1110FA FF01501B
	v_mul_f32_dpp v137, v27, v137 row_newbcast:1 row_mask:0xf bank_mask:0xf// 000000005A40: 0B1312FA FF01511B
	v_mul_f32_dpp v138, v27, v138 row_newbcast:2 row_mask:0xf bank_mask:0xf// 000000005A48: 0B1514FA FF01521B
	v_mul_f32_dpp v139, v27, v139 row_newbcast:3 row_mask:0xf bank_mask:0xf// 000000005A50: 0B1716FA FF01531B
	v_cvt_f32_i32_e32 v140, v140                               // 000000005A58: 7F180B8C
	v_cvt_f32_i32_e32 v141, v141                               // 000000005A5C: 7F1A0B8D
	v_cvt_f32_i32_e32 v142, v142                               // 000000005A60: 7F1C0B8E
	v_cvt_f32_i32_e32 v143, v143                               // 000000005A64: 7F1E0B8F
	v_mul_f32_dpp v140, v27, v140 row_newbcast:4 row_mask:0xf bank_mask:0xf// 000000005A68: 0B1918FA FF01541B
	v_mul_f32_dpp v141, v27, v141 row_newbcast:5 row_mask:0xf bank_mask:0xf// 000000005A70: 0B1B1AFA FF01551B
	v_mul_f32_dpp v142, v27, v142 row_newbcast:6 row_mask:0xf bank_mask:0xf// 000000005A78: 0B1D1CFA FF01561B
	v_mul_f32_dpp v143, v27, v143 row_newbcast:7 row_mask:0xf bank_mask:0xf// 000000005A80: 0B1F1EFA FF01571B
	v_cvt_f32_i32_e32 v144, v144                               // 000000005A88: 7F200B90
	v_cvt_f32_i32_e32 v145, v145                               // 000000005A8C: 7F220B91
	v_cvt_f32_i32_e32 v146, v146                               // 000000005A90: 7F240B92
	v_cvt_f32_i32_e32 v147, v147                               // 000000005A94: 7F260B93
	v_mul_f32_dpp v144, v27, v144 row_newbcast:4 row_mask:0xf bank_mask:0xf// 000000005A98: 0B2120FA FF01541B
	v_mul_f32_dpp v145, v27, v145 row_newbcast:5 row_mask:0xf bank_mask:0xf// 000000005AA0: 0B2322FA FF01551B
	v_mul_f32_dpp v146, v27, v146 row_newbcast:6 row_mask:0xf bank_mask:0xf// 000000005AA8: 0B2524FA FF01561B
	v_mul_f32_dpp v147, v27, v147 row_newbcast:7 row_mask:0xf bank_mask:0xf// 000000005AB0: 0B2726FA FF01571B
	v_cvt_f32_i32_e32 v148, v148                               // 000000005AB8: 7F280B94
	v_cvt_f32_i32_e32 v149, v149                               // 000000005ABC: 7F2A0B95
	v_cvt_f32_i32_e32 v150, v150                               // 000000005AC0: 7F2C0B96
	v_cvt_f32_i32_e32 v151, v151                               // 000000005AC4: 7F2E0B97
	v_mul_f32_dpp v148, v27, v148 row_newbcast:4 row_mask:0xf bank_mask:0xf// 000000005AC8: 0B2928FA FF01541B
	v_mul_f32_dpp v149, v27, v149 row_newbcast:5 row_mask:0xf bank_mask:0xf// 000000005AD0: 0B2B2AFA FF01551B
	v_mul_f32_dpp v150, v27, v150 row_newbcast:6 row_mask:0xf bank_mask:0xf// 000000005AD8: 0B2D2CFA FF01561B
	v_mul_f32_dpp v151, v27, v151 row_newbcast:7 row_mask:0xf bank_mask:0xf// 000000005AE0: 0B2F2EFA FF01571B
	v_cvt_f32_i32_e32 v152, v152                               // 000000005AE8: 7F300B98
	v_cvt_f32_i32_e32 v153, v153                               // 000000005AEC: 7F320B99
	v_cvt_f32_i32_e32 v154, v154                               // 000000005AF0: 7F340B9A
	v_cvt_f32_i32_e32 v155, v155                               // 000000005AF4: 7F360B9B
	v_mul_f32_dpp v152, v27, v152 row_newbcast:4 row_mask:0xf bank_mask:0xf// 000000005AF8: 0B3130FA FF01541B
	v_mul_f32_dpp v153, v27, v153 row_newbcast:5 row_mask:0xf bank_mask:0xf// 000000005B00: 0B3332FA FF01551B
	v_mul_f32_dpp v154, v27, v154 row_newbcast:6 row_mask:0xf bank_mask:0xf// 000000005B08: 0B3534FA FF01561B
	v_mul_f32_dpp v155, v27, v155 row_newbcast:7 row_mask:0xf bank_mask:0xf// 000000005B10: 0B3736FA FF01571B
	v_cvt_f32_i32_e32 v156, v156                               // 000000005B18: 7F380B9C
	v_cvt_f32_i32_e32 v157, v157                               // 000000005B1C: 7F3A0B9D
	v_cvt_f32_i32_e32 v158, v158                               // 000000005B20: 7F3C0B9E
	v_cvt_f32_i32_e32 v159, v159                               // 000000005B24: 7F3E0B9F
	v_mul_f32_dpp v156, v27, v156 row_newbcast:8 row_mask:0xf bank_mask:0xf// 000000005B28: 0B3938FA FF01581B
	v_mul_f32_dpp v157, v27, v157 row_newbcast:9 row_mask:0xf bank_mask:0xf// 000000005B30: 0B3B3AFA FF01591B
	v_mul_f32_dpp v158, v27, v158 row_newbcast:10 row_mask:0xf bank_mask:0xf// 000000005B38: 0B3D3CFA FF015A1B
	v_mul_f32_dpp v159, v27, v159 row_newbcast:11 row_mask:0xf bank_mask:0xf// 000000005B40: 0B3F3EFA FF015B1B
	v_cvt_f32_i32_e32 v160, v160                               // 000000005B48: 7F400BA0
	v_cvt_f32_i32_e32 v161, v161                               // 000000005B4C: 7F420BA1
	v_cvt_f32_i32_e32 v162, v162                               // 000000005B50: 7F440BA2
	v_cvt_f32_i32_e32 v163, v163                               // 000000005B54: 7F460BA3
	v_mul_f32_dpp v160, v27, v160 row_newbcast:8 row_mask:0xf bank_mask:0xf// 000000005B58: 0B4140FA FF01581B
	v_mul_f32_dpp v161, v27, v161 row_newbcast:9 row_mask:0xf bank_mask:0xf// 000000005B60: 0B4342FA FF01591B
	v_mul_f32_dpp v162, v27, v162 row_newbcast:10 row_mask:0xf bank_mask:0xf// 000000005B68: 0B4544FA FF015A1B
	v_mul_f32_dpp v163, v27, v163 row_newbcast:11 row_mask:0xf bank_mask:0xf// 000000005B70: 0B4746FA FF015B1B
	v_cvt_f32_i32_e32 v164, v164                               // 000000005B78: 7F480BA4
	v_cvt_f32_i32_e32 v165, v165                               // 000000005B7C: 7F4A0BA5
	v_cvt_f32_i32_e32 v166, v166                               // 000000005B80: 7F4C0BA6
	v_cvt_f32_i32_e32 v167, v167                               // 000000005B84: 7F4E0BA7
	v_mul_f32_dpp v164, v27, v164 row_newbcast:8 row_mask:0xf bank_mask:0xf// 000000005B88: 0B4948FA FF01581B
	v_mul_f32_dpp v165, v27, v165 row_newbcast:9 row_mask:0xf bank_mask:0xf// 000000005B90: 0B4B4AFA FF01591B
	v_mul_f32_dpp v166, v27, v166 row_newbcast:10 row_mask:0xf bank_mask:0xf// 000000005B98: 0B4D4CFA FF015A1B
	v_mul_f32_dpp v167, v27, v167 row_newbcast:11 row_mask:0xf bank_mask:0xf// 000000005BA0: 0B4F4EFA FF015B1B
	v_cvt_f32_i32_e32 v168, v168                               // 000000005BA8: 7F500BA8
	v_cvt_f32_i32_e32 v169, v169                               // 000000005BAC: 7F520BA9
	v_cvt_f32_i32_e32 v170, v170                               // 000000005BB0: 7F540BAA
	v_cvt_f32_i32_e32 v171, v171                               // 000000005BB4: 7F560BAB
	v_mul_f32_dpp v168, v27, v168 row_newbcast:8 row_mask:0xf bank_mask:0xf// 000000005BB8: 0B5150FA FF01581B
	v_mul_f32_dpp v169, v27, v169 row_newbcast:9 row_mask:0xf bank_mask:0xf// 000000005BC0: 0B5352FA FF01591B
	v_mul_f32_dpp v170, v27, v170 row_newbcast:10 row_mask:0xf bank_mask:0xf// 000000005BC8: 0B5554FA FF015A1B
	v_mul_f32_dpp v171, v27, v171 row_newbcast:11 row_mask:0xf bank_mask:0xf// 000000005BD0: 0B5756FA FF015B1B
	v_cvt_f32_i32_e32 v172, v172                               // 000000005BD8: 7F580BAC
	v_cvt_f32_i32_e32 v173, v173                               // 000000005BDC: 7F5A0BAD
	v_cvt_f32_i32_e32 v174, v174                               // 000000005BE0: 7F5C0BAE
	v_cvt_f32_i32_e32 v175, v175                               // 000000005BE4: 7F5E0BAF
	v_mul_f32_dpp v172, v27, v172 row_newbcast:12 row_mask:0xf bank_mask:0xf// 000000005BE8: 0B5958FA FF015C1B
	v_mul_f32_dpp v173, v27, v173 row_newbcast:13 row_mask:0xf bank_mask:0xf// 000000005BF0: 0B5B5AFA FF015D1B
	v_mul_f32_dpp v174, v27, v174 row_newbcast:14 row_mask:0xf bank_mask:0xf// 000000005BF8: 0B5D5CFA FF015E1B
	v_mul_f32_dpp v175, v27, v175 row_newbcast:15 row_mask:0xf bank_mask:0xf// 000000005C00: 0B5F5EFA FF015F1B
	v_cvt_f32_i32_e32 v176, v176                               // 000000005C08: 7F600BB0
	v_cvt_f32_i32_e32 v177, v177                               // 000000005C0C: 7F620BB1
	v_cvt_f32_i32_e32 v178, v178                               // 000000005C10: 7F640BB2
	v_cvt_f32_i32_e32 v179, v179                               // 000000005C14: 7F660BB3
	v_mul_f32_dpp v176, v27, v176 row_newbcast:12 row_mask:0xf bank_mask:0xf// 000000005C18: 0B6160FA FF015C1B
	v_mul_f32_dpp v177, v27, v177 row_newbcast:13 row_mask:0xf bank_mask:0xf// 000000005C20: 0B6362FA FF015D1B
	v_mul_f32_dpp v178, v27, v178 row_newbcast:14 row_mask:0xf bank_mask:0xf// 000000005C28: 0B6564FA FF015E1B
	v_mul_f32_dpp v179, v27, v179 row_newbcast:15 row_mask:0xf bank_mask:0xf// 000000005C30: 0B6766FA FF015F1B
	v_cvt_f32_i32_e32 v180, v180                               // 000000005C38: 7F680BB4
	v_cvt_f32_i32_e32 v181, v181                               // 000000005C3C: 7F6A0BB5
	v_cvt_f32_i32_e32 v182, v182                               // 000000005C40: 7F6C0BB6
	v_cvt_f32_i32_e32 v183, v183                               // 000000005C44: 7F6E0BB7
	v_mul_f32_dpp v180, v27, v180 row_newbcast:12 row_mask:0xf bank_mask:0xf// 000000005C48: 0B6968FA FF015C1B
	v_mul_f32_dpp v181, v27, v181 row_newbcast:13 row_mask:0xf bank_mask:0xf// 000000005C50: 0B6B6AFA FF015D1B
	v_mul_f32_dpp v182, v27, v182 row_newbcast:14 row_mask:0xf bank_mask:0xf// 000000005C58: 0B6D6CFA FF015E1B
	v_mul_f32_dpp v183, v27, v183 row_newbcast:15 row_mask:0xf bank_mask:0xf// 000000005C60: 0B6F6EFA FF015F1B
	v_cvt_f32_i32_e32 v184, v184                               // 000000005C68: 7F700BB8
	v_cvt_f32_i32_e32 v185, v185                               // 000000005C6C: 7F720BB9
	v_cvt_f32_i32_e32 v186, v186                               // 000000005C70: 7F740BBA
	v_cvt_f32_i32_e32 v187, v187                               // 000000005C74: 7F760BBB
	v_mul_f32_dpp v184, v27, v184 row_newbcast:12 row_mask:0xf bank_mask:0xf// 000000005C78: 0B7170FA FF015C1B
	v_mul_f32_dpp v185, v27, v185 row_newbcast:13 row_mask:0xf bank_mask:0xf// 000000005C80: 0B7372FA FF015D1B
	v_mul_f32_dpp v186, v27, v186 row_newbcast:14 row_mask:0xf bank_mask:0xf// 000000005C88: 0B7574FA FF015E1B
	v_mul_f32_dpp v187, v27, v187 row_newbcast:15 row_mask:0xf bank_mask:0xf// 000000005C90: 0B7776FA FF015F1B
	v_mov_b32_e32 v4, v34                                      // 000000005C98: 7E080322
	v_mov_b32_e32 v5, v4                                       // 000000005C9C: 7E0A0304
	v_pk_mul_f32 v[60:61], v[4:5], v[60:61]                    // 000000005CA0: D3B1403C 18027904
	v_pk_mul_f32 v[124:125], v[4:5], v[124:125]                // 000000005CA8: D3B1407C 1802F904
	v_pk_mul_f32 v[62:63], v[4:5], v[62:63]                    // 000000005CB0: D3B1403E 18027D04
	v_pk_mul_f32 v[126:127], v[4:5], v[126:127]                // 000000005CB8: D3B1407E 1802FD04
	v_pk_mul_f32 v[76:77], v[4:5], v[76:77]                    // 000000005CC0: D3B1404C 18029904
	v_pk_mul_f32 v[140:141], v[4:5], v[140:141]                // 000000005CC8: D3B1408C 18031904
	v_pk_mul_f32 v[78:79], v[4:5], v[78:79]                    // 000000005CD0: D3B1404E 18029D04
	v_pk_mul_f32 v[142:143], v[4:5], v[142:143]                // 000000005CD8: D3B1408E 18031D04
	v_pk_mul_f32 v[92:93], v[4:5], v[92:93]                    // 000000005CE0: D3B1405C 1802B904
	v_pk_mul_f32 v[156:157], v[4:5], v[156:157]                // 000000005CE8: D3B1409C 18033904
	v_pk_mul_f32 v[94:95], v[4:5], v[94:95]                    // 000000005CF0: D3B1405E 1802BD04
	v_pk_mul_f32 v[158:159], v[4:5], v[158:159]                // 000000005CF8: D3B1409E 18033D04
	v_pk_mul_f32 v[108:109], v[4:5], v[108:109]                // 000000005D00: D3B1406C 1802D904
	v_pk_mul_f32 v[172:173], v[4:5], v[172:173]                // 000000005D08: D3B140AC 18035904
	v_pk_mul_f32 v[110:111], v[4:5], v[110:111]                // 000000005D10: D3B1406E 1802DD04
	v_pk_mul_f32 v[174:175], v[4:5], v[174:175]                // 000000005D18: D3B140AE 18035D04
	v_mov_b32_e32 v4, v35                                      // 000000005D20: 7E080323
	v_mov_b32_e32 v5, v4                                       // 000000005D24: 7E0A0304
	v_pk_mul_f32 v[64:65], v[4:5], v[64:65]                    // 000000005D28: D3B14040 18028104
	v_pk_mul_f32 v[128:129], v[4:5], v[128:129]                // 000000005D30: D3B14080 18030104
	v_pk_mul_f32 v[66:67], v[4:5], v[66:67]                    // 000000005D38: D3B14042 18028504
	v_pk_mul_f32 v[130:131], v[4:5], v[130:131]                // 000000005D40: D3B14082 18030504
	v_pk_mul_f32 v[80:81], v[4:5], v[80:81]                    // 000000005D48: D3B14050 1802A104
	v_pk_mul_f32 v[144:145], v[4:5], v[144:145]                // 000000005D50: D3B14090 18032104
	v_pk_mul_f32 v[82:83], v[4:5], v[82:83]                    // 000000005D58: D3B14052 1802A504
	v_pk_mul_f32 v[146:147], v[4:5], v[146:147]                // 000000005D60: D3B14092 18032504
	v_pk_mul_f32 v[96:97], v[4:5], v[96:97]                    // 000000005D68: D3B14060 1802C104
	v_pk_mul_f32 v[160:161], v[4:5], v[160:161]                // 000000005D70: D3B140A0 18034104
	v_pk_mul_f32 v[98:99], v[4:5], v[98:99]                    // 000000005D78: D3B14062 1802C504
	v_pk_mul_f32 v[162:163], v[4:5], v[162:163]                // 000000005D80: D3B140A2 18034504
	v_pk_mul_f32 v[112:113], v[4:5], v[112:113]                // 000000005D88: D3B14070 1802E104
	v_pk_mul_f32 v[176:177], v[4:5], v[176:177]                // 000000005D90: D3B140B0 18036104
	v_pk_mul_f32 v[114:115], v[4:5], v[114:115]                // 000000005D98: D3B14072 1802E504
	v_pk_mul_f32 v[178:179], v[4:5], v[178:179]                // 000000005DA0: D3B140B2 18036504
	v_mov_b32_e32 v4, v36                                      // 000000005DA8: 7E080324
	v_mov_b32_e32 v5, v4                                       // 000000005DAC: 7E0A0304
	v_pk_mul_f32 v[68:69], v[4:5], v[68:69]                    // 000000005DB0: D3B14044 18028904
	v_pk_mul_f32 v[132:133], v[4:5], v[132:133]                // 000000005DB8: D3B14084 18030904
	v_pk_mul_f32 v[70:71], v[4:5], v[70:71]                    // 000000005DC0: D3B14046 18028D04
	v_pk_mul_f32 v[134:135], v[4:5], v[134:135]                // 000000005DC8: D3B14086 18030D04
	v_pk_mul_f32 v[84:85], v[4:5], v[84:85]                    // 000000005DD0: D3B14054 1802A904
	v_pk_mul_f32 v[148:149], v[4:5], v[148:149]                // 000000005DD8: D3B14094 18032904
	v_pk_mul_f32 v[86:87], v[4:5], v[86:87]                    // 000000005DE0: D3B14056 1802AD04
	v_pk_mul_f32 v[150:151], v[4:5], v[150:151]                // 000000005DE8: D3B14096 18032D04
	v_pk_mul_f32 v[100:101], v[4:5], v[100:101]                // 000000005DF0: D3B14064 1802C904
	v_pk_mul_f32 v[164:165], v[4:5], v[164:165]                // 000000005DF8: D3B140A4 18034904
	v_pk_mul_f32 v[102:103], v[4:5], v[102:103]                // 000000005E00: D3B14066 1802CD04
	v_pk_mul_f32 v[166:167], v[4:5], v[166:167]                // 000000005E08: D3B140A6 18034D04
	v_pk_mul_f32 v[116:117], v[4:5], v[116:117]                // 000000005E10: D3B14074 1802E904
	v_pk_mul_f32 v[180:181], v[4:5], v[180:181]                // 000000005E18: D3B140B4 18036904
	v_pk_mul_f32 v[118:119], v[4:5], v[118:119]                // 000000005E20: D3B14076 1802ED04
	v_pk_mul_f32 v[182:183], v[4:5], v[182:183]                // 000000005E28: D3B140B6 18036D04
	v_mov_b32_e32 v4, v37                                      // 000000005E30: 7E080325
	v_mov_b32_e32 v5, v4                                       // 000000005E34: 7E0A0304
	v_pk_mul_f32 v[72:73], v[4:5], v[72:73]                    // 000000005E38: D3B14048 18029104
	v_pk_mul_f32 v[136:137], v[4:5], v[136:137]                // 000000005E40: D3B14088 18031104
	v_pk_mul_f32 v[74:75], v[4:5], v[74:75]                    // 000000005E48: D3B1404A 18029504
	v_pk_mul_f32 v[138:139], v[4:5], v[138:139]                // 000000005E50: D3B1408A 18031504
	v_pk_mul_f32 v[88:89], v[4:5], v[88:89]                    // 000000005E58: D3B14058 1802B104
	v_pk_mul_f32 v[152:153], v[4:5], v[152:153]                // 000000005E60: D3B14098 18033104
	v_pk_mul_f32 v[90:91], v[4:5], v[90:91]                    // 000000005E68: D3B1405A 1802B504
	v_pk_mul_f32 v[154:155], v[4:5], v[154:155]                // 000000005E70: D3B1409A 18033504
	v_pk_mul_f32 v[104:105], v[4:5], v[104:105]                // 000000005E78: D3B14068 1802D104
	v_pk_mul_f32 v[168:169], v[4:5], v[168:169]                // 000000005E80: D3B140A8 18035104
	v_pk_mul_f32 v[106:107], v[4:5], v[106:107]                // 000000005E88: D3B1406A 1802D504
	v_pk_mul_f32 v[170:171], v[4:5], v[170:171]                // 000000005E90: D3B140AA 18035504
	v_pk_mul_f32 v[120:121], v[4:5], v[120:121]                // 000000005E98: D3B14078 1802F104
	v_pk_mul_f32 v[184:185], v[4:5], v[184:185]                // 000000005EA0: D3B140B8 18037104
	v_pk_mul_f32 v[122:123], v[4:5], v[122:123]                // 000000005EA8: D3B1407A 1802F504
	v_pk_mul_f32 v[186:187], v[4:5], v[186:187]                // 000000005EB0: D3B140BA 18037504
	s_cmp_eq_u32 s88, 0                                        // 000000005EB8: BF068058
	s_cbranch_scc0 label_1561                                  // 000000005EBC: BF840831
	s_cmp_eq_u32 s89, 0                                        // 000000005EC0: BF068059
	s_cbranch_scc1 label_0FB7                                  // 000000005EC4: BF850285
	v_mov_b32_e32 v8, v1                                       // 000000005EC8: 7E100301
	v_mov_b32_e32 v9, v1                                       // 000000005ECC: 7E120301
	s_mov_b32 s60, s6                                          // 000000005ED0: BEBC0006
	s_mov_b32 s61, s6                                          // 000000005ED4: BEBD0006
	v_pk_mul_f32 v[4:5], v[60:61], v[60:61]                    // 000000005ED8: D3B14004 1802793C
	v_pk_mul_f32 v[6:7], v[62:63], v[62:63]                    // 000000005EE0: D3B14006 18027D3E
	v_pk_fma_f32 v[4:5], v[4:5], s[78:79], v[8:9]              // 000000005EE8: D3B04004 1C209D04
	v_pk_fma_f32 v[6:7], v[6:7], s[78:79], v[8:9]              // 000000005EF0: D3B04006 1C209D06
	v_pk_mul_f32 v[4:5], v[4:5], v[60:61]                      // 000000005EF8: D3B14004 18027904
	v_pk_mul_f32 v[6:7], v[6:7], v[62:63]                      // 000000005F00: D3B14006 18027D06
	v_pk_mul_f32 v[4:5], v[4:5], s[60:61]                      // 000000005F08: D3B14004 18007904
	v_pk_mul_f32 v[6:7], v[6:7], s[60:61]                      // 000000005F10: D3B14006 18007906
	v_exp_f32_e32 v4, v4                                       // 000000005F18: 7E084104
	v_exp_f32_e32 v5, v5                                       // 000000005F1C: 7E0A4105
	v_exp_f32_e32 v6, v6                                       // 000000005F20: 7E0C4106
	v_exp_f32_e32 v7, v7                                       // 000000005F24: 7E0E4107
	v_add_f32_e64 v4, v4, 1.0                                  // 000000005F28: D1010004 0001E504
	v_add_f32_e64 v5, v5, 1.0                                  // 000000005F30: D1010005 0001E505
	v_add_f32_e64 v6, v6, 1.0                                  // 000000005F38: D1010006 0001E506
	v_add_f32_e64 v7, v7, 1.0                                  // 000000005F40: D1010007 0001E507
	v_rcp_f32_e32 v4, v4                                       // 000000005F48: 7E084504
	v_rcp_f32_e32 v5, v5                                       // 000000005F4C: 7E0A4505
	v_rcp_f32_e32 v6, v6                                       // 000000005F50: 7E0C4506
	v_rcp_f32_e32 v7, v7                                       // 000000005F54: 7E0E4507
	v_mul_f32_e32 v60, v60, v4                                 // 000000005F58: 0A78093C
	v_mul_f32_e32 v61, v61, v5                                 // 000000005F5C: 0A7A0B3D
	v_mul_f32_e32 v62, v62, v6                                 // 000000005F60: 0A7C0D3E
	v_mul_f32_e32 v63, v63, v7                                 // 000000005F64: 0A7E0F3F
	v_mul_f32_e32 v60, v60, v124                               // 000000005F68: 0A78F93C
	v_mul_f32_e32 v61, v61, v125                               // 000000005F6C: 0A7AFB3D
	v_mul_f32_e32 v62, v62, v126                               // 000000005F70: 0A7CFD3E
	v_mul_f32_e32 v63, v63, v127                               // 000000005F74: 0A7EFF3F
	v_pk_mul_f32 v[4:5], v[64:65], v[64:65]                    // 000000005F78: D3B14004 18028140
	v_pk_mul_f32 v[6:7], v[66:67], v[66:67]                    // 000000005F80: D3B14006 18028542
	v_pk_fma_f32 v[4:5], v[4:5], s[78:79], v[8:9]              // 000000005F88: D3B04004 1C209D04
	v_pk_fma_f32 v[6:7], v[6:7], s[78:79], v[8:9]              // 000000005F90: D3B04006 1C209D06
	v_pk_mul_f32 v[4:5], v[4:5], v[64:65]                      // 000000005F98: D3B14004 18028104
	v_pk_mul_f32 v[6:7], v[6:7], v[66:67]                      // 000000005FA0: D3B14006 18028506
	v_pk_mul_f32 v[4:5], v[4:5], s[60:61]                      // 000000005FA8: D3B14004 18007904
	v_pk_mul_f32 v[6:7], v[6:7], s[60:61]                      // 000000005FB0: D3B14006 18007906
	v_exp_f32_e32 v4, v4                                       // 000000005FB8: 7E084104
	v_exp_f32_e32 v5, v5                                       // 000000005FBC: 7E0A4105
	v_exp_f32_e32 v6, v6                                       // 000000005FC0: 7E0C4106
	v_exp_f32_e32 v7, v7                                       // 000000005FC4: 7E0E4107
	v_add_f32_e64 v4, v4, 1.0                                  // 000000005FC8: D1010004 0001E504
	v_add_f32_e64 v5, v5, 1.0                                  // 000000005FD0: D1010005 0001E505
	v_add_f32_e64 v6, v6, 1.0                                  // 000000005FD8: D1010006 0001E506
	v_add_f32_e64 v7, v7, 1.0                                  // 000000005FE0: D1010007 0001E507
	v_rcp_f32_e32 v4, v4                                       // 000000005FE8: 7E084504
	v_rcp_f32_e32 v5, v5                                       // 000000005FEC: 7E0A4505
	v_rcp_f32_e32 v6, v6                                       // 000000005FF0: 7E0C4506
	v_rcp_f32_e32 v7, v7                                       // 000000005FF4: 7E0E4507
	v_mul_f32_e32 v64, v64, v4                                 // 000000005FF8: 0A800940
	v_mul_f32_e32 v65, v65, v5                                 // 000000005FFC: 0A820B41
	v_mul_f32_e32 v66, v66, v6                                 // 000000006000: 0A840D42
	v_mul_f32_e32 v67, v67, v7                                 // 000000006004: 0A860F43
	v_mul_f32_e32 v64, v64, v128                               // 000000006008: 0A810140
	v_mul_f32_e32 v65, v65, v129                               // 00000000600C: 0A830341
	v_mul_f32_e32 v66, v66, v130                               // 000000006010: 0A850542
	v_mul_f32_e32 v67, v67, v131                               // 000000006014: 0A870743
	v_pk_mul_f32 v[4:5], v[68:69], v[68:69]                    // 000000006018: D3B14004 18028944
	v_pk_mul_f32 v[6:7], v[70:71], v[70:71]                    // 000000006020: D3B14006 18028D46
	v_pk_fma_f32 v[4:5], v[4:5], s[78:79], v[8:9]              // 000000006028: D3B04004 1C209D04
	v_pk_fma_f32 v[6:7], v[6:7], s[78:79], v[8:9]              // 000000006030: D3B04006 1C209D06
	v_pk_mul_f32 v[4:5], v[4:5], v[68:69]                      // 000000006038: D3B14004 18028904
	v_pk_mul_f32 v[6:7], v[6:7], v[70:71]                      // 000000006040: D3B14006 18028D06
	v_pk_mul_f32 v[4:5], v[4:5], s[60:61]                      // 000000006048: D3B14004 18007904
	v_pk_mul_f32 v[6:7], v[6:7], s[60:61]                      // 000000006050: D3B14006 18007906
	v_exp_f32_e32 v4, v4                                       // 000000006058: 7E084104
	v_exp_f32_e32 v5, v5                                       // 00000000605C: 7E0A4105
	v_exp_f32_e32 v6, v6                                       // 000000006060: 7E0C4106
	v_exp_f32_e32 v7, v7                                       // 000000006064: 7E0E4107
	v_add_f32_e64 v4, v4, 1.0                                  // 000000006068: D1010004 0001E504
	v_add_f32_e64 v5, v5, 1.0                                  // 000000006070: D1010005 0001E505
	v_add_f32_e64 v6, v6, 1.0                                  // 000000006078: D1010006 0001E506
	v_add_f32_e64 v7, v7, 1.0                                  // 000000006080: D1010007 0001E507
	v_rcp_f32_e32 v4, v4                                       // 000000006088: 7E084504
	v_rcp_f32_e32 v5, v5                                       // 00000000608C: 7E0A4505
	v_rcp_f32_e32 v6, v6                                       // 000000006090: 7E0C4506
	v_rcp_f32_e32 v7, v7                                       // 000000006094: 7E0E4507
	v_mul_f32_e32 v68, v68, v4                                 // 000000006098: 0A880944
	v_mul_f32_e32 v69, v69, v5                                 // 00000000609C: 0A8A0B45
	v_mul_f32_e32 v70, v70, v6                                 // 0000000060A0: 0A8C0D46
	v_mul_f32_e32 v71, v71, v7                                 // 0000000060A4: 0A8E0F47
	v_mul_f32_e32 v68, v68, v132                               // 0000000060A8: 0A890944
	v_mul_f32_e32 v69, v69, v133                               // 0000000060AC: 0A8B0B45
	v_mul_f32_e32 v70, v70, v134                               // 0000000060B0: 0A8D0D46
	v_mul_f32_e32 v71, v71, v135                               // 0000000060B4: 0A8F0F47
	v_pk_mul_f32 v[4:5], v[72:73], v[72:73]                    // 0000000060B8: D3B14004 18029148
	v_pk_mul_f32 v[6:7], v[74:75], v[74:75]                    // 0000000060C0: D3B14006 1802954A
	v_pk_fma_f32 v[4:5], v[4:5], s[78:79], v[8:9]              // 0000000060C8: D3B04004 1C209D04
	v_pk_fma_f32 v[6:7], v[6:7], s[78:79], v[8:9]              // 0000000060D0: D3B04006 1C209D06
	v_pk_mul_f32 v[4:5], v[4:5], v[72:73]                      // 0000000060D8: D3B14004 18029104
	v_pk_mul_f32 v[6:7], v[6:7], v[74:75]                      // 0000000060E0: D3B14006 18029506
	v_pk_mul_f32 v[4:5], v[4:5], s[60:61]                      // 0000000060E8: D3B14004 18007904
	v_pk_mul_f32 v[6:7], v[6:7], s[60:61]                      // 0000000060F0: D3B14006 18007906
	v_exp_f32_e32 v4, v4                                       // 0000000060F8: 7E084104
	v_exp_f32_e32 v5, v5                                       // 0000000060FC: 7E0A4105
	v_exp_f32_e32 v6, v6                                       // 000000006100: 7E0C4106
	v_exp_f32_e32 v7, v7                                       // 000000006104: 7E0E4107
	v_add_f32_e64 v4, v4, 1.0                                  // 000000006108: D1010004 0001E504
	v_add_f32_e64 v5, v5, 1.0                                  // 000000006110: D1010005 0001E505
	v_add_f32_e64 v6, v6, 1.0                                  // 000000006118: D1010006 0001E506
	v_add_f32_e64 v7, v7, 1.0                                  // 000000006120: D1010007 0001E507
	v_rcp_f32_e32 v4, v4                                       // 000000006128: 7E084504
	v_rcp_f32_e32 v5, v5                                       // 00000000612C: 7E0A4505
	v_rcp_f32_e32 v6, v6                                       // 000000006130: 7E0C4506
	v_rcp_f32_e32 v7, v7                                       // 000000006134: 7E0E4507
	v_mul_f32_e32 v72, v72, v4                                 // 000000006138: 0A900948
	v_mul_f32_e32 v73, v73, v5                                 // 00000000613C: 0A920B49
	v_mul_f32_e32 v74, v74, v6                                 // 000000006140: 0A940D4A
	v_mul_f32_e32 v75, v75, v7                                 // 000000006144: 0A960F4B
	v_mul_f32_e32 v72, v72, v136                               // 000000006148: 0A911148
	v_mul_f32_e32 v73, v73, v137                               // 00000000614C: 0A931349
	v_mul_f32_e32 v74, v74, v138                               // 000000006150: 0A95154A
	v_mul_f32_e32 v75, v75, v139                               // 000000006154: 0A97174B
	v_pk_mul_f32 v[4:5], v[76:77], v[76:77]                    // 000000006158: D3B14004 1802994C
	v_pk_mul_f32 v[6:7], v[78:79], v[78:79]                    // 000000006160: D3B14006 18029D4E
	v_pk_fma_f32 v[4:5], v[4:5], s[78:79], v[8:9]              // 000000006168: D3B04004 1C209D04
	v_pk_fma_f32 v[6:7], v[6:7], s[78:79], v[8:9]              // 000000006170: D3B04006 1C209D06
	v_pk_mul_f32 v[4:5], v[4:5], v[76:77]                      // 000000006178: D3B14004 18029904
	v_pk_mul_f32 v[6:7], v[6:7], v[78:79]                      // 000000006180: D3B14006 18029D06
	v_pk_mul_f32 v[4:5], v[4:5], s[60:61]                      // 000000006188: D3B14004 18007904
	v_pk_mul_f32 v[6:7], v[6:7], s[60:61]                      // 000000006190: D3B14006 18007906
	v_exp_f32_e32 v4, v4                                       // 000000006198: 7E084104
	v_exp_f32_e32 v5, v5                                       // 00000000619C: 7E0A4105
	v_exp_f32_e32 v6, v6                                       // 0000000061A0: 7E0C4106
	v_exp_f32_e32 v7, v7                                       // 0000000061A4: 7E0E4107
	v_add_f32_e64 v4, v4, 1.0                                  // 0000000061A8: D1010004 0001E504
	v_add_f32_e64 v5, v5, 1.0                                  // 0000000061B0: D1010005 0001E505
	v_add_f32_e64 v6, v6, 1.0                                  // 0000000061B8: D1010006 0001E506
	v_add_f32_e64 v7, v7, 1.0                                  // 0000000061C0: D1010007 0001E507
	v_rcp_f32_e32 v4, v4                                       // 0000000061C8: 7E084504
	v_rcp_f32_e32 v5, v5                                       // 0000000061CC: 7E0A4505
	v_rcp_f32_e32 v6, v6                                       // 0000000061D0: 7E0C4506
	v_rcp_f32_e32 v7, v7                                       // 0000000061D4: 7E0E4507
	v_mul_f32_e32 v76, v76, v4                                 // 0000000061D8: 0A98094C
	v_mul_f32_e32 v77, v77, v5                                 // 0000000061DC: 0A9A0B4D
	v_mul_f32_e32 v78, v78, v6                                 // 0000000061E0: 0A9C0D4E
	v_mul_f32_e32 v79, v79, v7                                 // 0000000061E4: 0A9E0F4F
	v_mul_f32_e32 v76, v76, v140                               // 0000000061E8: 0A99194C
	v_mul_f32_e32 v77, v77, v141                               // 0000000061EC: 0A9B1B4D
	v_mul_f32_e32 v78, v78, v142                               // 0000000061F0: 0A9D1D4E
	v_mul_f32_e32 v79, v79, v143                               // 0000000061F4: 0A9F1F4F
	v_pk_mul_f32 v[4:5], v[80:81], v[80:81]                    // 0000000061F8: D3B14004 1802A150
	v_pk_mul_f32 v[6:7], v[82:83], v[82:83]                    // 000000006200: D3B14006 1802A552
	v_pk_fma_f32 v[4:5], v[4:5], s[78:79], v[8:9]              // 000000006208: D3B04004 1C209D04
	v_pk_fma_f32 v[6:7], v[6:7], s[78:79], v[8:9]              // 000000006210: D3B04006 1C209D06
	v_pk_mul_f32 v[4:5], v[4:5], v[80:81]                      // 000000006218: D3B14004 1802A104
	v_pk_mul_f32 v[6:7], v[6:7], v[82:83]                      // 000000006220: D3B14006 1802A506
	v_pk_mul_f32 v[4:5], v[4:5], s[60:61]                      // 000000006228: D3B14004 18007904
	v_pk_mul_f32 v[6:7], v[6:7], s[60:61]                      // 000000006230: D3B14006 18007906
	v_exp_f32_e32 v4, v4                                       // 000000006238: 7E084104
	v_exp_f32_e32 v5, v5                                       // 00000000623C: 7E0A4105
	v_exp_f32_e32 v6, v6                                       // 000000006240: 7E0C4106
	v_exp_f32_e32 v7, v7                                       // 000000006244: 7E0E4107
	v_add_f32_e64 v4, v4, 1.0                                  // 000000006248: D1010004 0001E504
	v_add_f32_e64 v5, v5, 1.0                                  // 000000006250: D1010005 0001E505
	v_add_f32_e64 v6, v6, 1.0                                  // 000000006258: D1010006 0001E506
	v_add_f32_e64 v7, v7, 1.0                                  // 000000006260: D1010007 0001E507
	v_rcp_f32_e32 v4, v4                                       // 000000006268: 7E084504
	v_rcp_f32_e32 v5, v5                                       // 00000000626C: 7E0A4505
	v_rcp_f32_e32 v6, v6                                       // 000000006270: 7E0C4506
	v_rcp_f32_e32 v7, v7                                       // 000000006274: 7E0E4507
	v_mul_f32_e32 v80, v80, v4                                 // 000000006278: 0AA00950
	v_mul_f32_e32 v81, v81, v5                                 // 00000000627C: 0AA20B51
	v_mul_f32_e32 v82, v82, v6                                 // 000000006280: 0AA40D52
	v_mul_f32_e32 v83, v83, v7                                 // 000000006284: 0AA60F53
	v_mul_f32_e32 v80, v80, v144                               // 000000006288: 0AA12150
	v_mul_f32_e32 v81, v81, v145                               // 00000000628C: 0AA32351
	v_mul_f32_e32 v82, v82, v146                               // 000000006290: 0AA52552
	v_mul_f32_e32 v83, v83, v147                               // 000000006294: 0AA72753
	v_pk_mul_f32 v[4:5], v[84:85], v[84:85]                    // 000000006298: D3B14004 1802A954
	v_pk_mul_f32 v[6:7], v[86:87], v[86:87]                    // 0000000062A0: D3B14006 1802AD56
	v_pk_fma_f32 v[4:5], v[4:5], s[78:79], v[8:9]              // 0000000062A8: D3B04004 1C209D04
	v_pk_fma_f32 v[6:7], v[6:7], s[78:79], v[8:9]              // 0000000062B0: D3B04006 1C209D06
	v_pk_mul_f32 v[4:5], v[4:5], v[84:85]                      // 0000000062B8: D3B14004 1802A904
	v_pk_mul_f32 v[6:7], v[6:7], v[86:87]                      // 0000000062C0: D3B14006 1802AD06
	v_pk_mul_f32 v[4:5], v[4:5], s[60:61]                      // 0000000062C8: D3B14004 18007904
	v_pk_mul_f32 v[6:7], v[6:7], s[60:61]                      // 0000000062D0: D3B14006 18007906
	v_exp_f32_e32 v4, v4                                       // 0000000062D8: 7E084104
	v_exp_f32_e32 v5, v5                                       // 0000000062DC: 7E0A4105
	v_exp_f32_e32 v6, v6                                       // 0000000062E0: 7E0C4106
	v_exp_f32_e32 v7, v7                                       // 0000000062E4: 7E0E4107
	v_add_f32_e64 v4, v4, 1.0                                  // 0000000062E8: D1010004 0001E504
	v_add_f32_e64 v5, v5, 1.0                                  // 0000000062F0: D1010005 0001E505
	v_add_f32_e64 v6, v6, 1.0                                  // 0000000062F8: D1010006 0001E506
	v_add_f32_e64 v7, v7, 1.0                                  // 000000006300: D1010007 0001E507
	v_rcp_f32_e32 v4, v4                                       // 000000006308: 7E084504
	v_rcp_f32_e32 v5, v5                                       // 00000000630C: 7E0A4505
	v_rcp_f32_e32 v6, v6                                       // 000000006310: 7E0C4506
	v_rcp_f32_e32 v7, v7                                       // 000000006314: 7E0E4507
	v_mul_f32_e32 v84, v84, v4                                 // 000000006318: 0AA80954
	v_mul_f32_e32 v85, v85, v5                                 // 00000000631C: 0AAA0B55
	v_mul_f32_e32 v86, v86, v6                                 // 000000006320: 0AAC0D56
	v_mul_f32_e32 v87, v87, v7                                 // 000000006324: 0AAE0F57
	v_mul_f32_e32 v84, v84, v148                               // 000000006328: 0AA92954
	v_mul_f32_e32 v85, v85, v149                               // 00000000632C: 0AAB2B55
	v_mul_f32_e32 v86, v86, v150                               // 000000006330: 0AAD2D56
	v_mul_f32_e32 v87, v87, v151                               // 000000006334: 0AAF2F57
	v_pk_mul_f32 v[4:5], v[88:89], v[88:89]                    // 000000006338: D3B14004 1802B158
	v_pk_mul_f32 v[6:7], v[90:91], v[90:91]                    // 000000006340: D3B14006 1802B55A
	v_pk_fma_f32 v[4:5], v[4:5], s[78:79], v[8:9]              // 000000006348: D3B04004 1C209D04
	v_pk_fma_f32 v[6:7], v[6:7], s[78:79], v[8:9]              // 000000006350: D3B04006 1C209D06
	v_pk_mul_f32 v[4:5], v[4:5], v[88:89]                      // 000000006358: D3B14004 1802B104
	v_pk_mul_f32 v[6:7], v[6:7], v[90:91]                      // 000000006360: D3B14006 1802B506
	v_pk_mul_f32 v[4:5], v[4:5], s[60:61]                      // 000000006368: D3B14004 18007904
	v_pk_mul_f32 v[6:7], v[6:7], s[60:61]                      // 000000006370: D3B14006 18007906
	v_exp_f32_e32 v4, v4                                       // 000000006378: 7E084104
	v_exp_f32_e32 v5, v5                                       // 00000000637C: 7E0A4105
	v_exp_f32_e32 v6, v6                                       // 000000006380: 7E0C4106
	v_exp_f32_e32 v7, v7                                       // 000000006384: 7E0E4107
	v_add_f32_e64 v4, v4, 1.0                                  // 000000006388: D1010004 0001E504
	v_add_f32_e64 v5, v5, 1.0                                  // 000000006390: D1010005 0001E505
	v_add_f32_e64 v6, v6, 1.0                                  // 000000006398: D1010006 0001E506
	v_add_f32_e64 v7, v7, 1.0                                  // 0000000063A0: D1010007 0001E507
	v_rcp_f32_e32 v4, v4                                       // 0000000063A8: 7E084504
	v_rcp_f32_e32 v5, v5                                       // 0000000063AC: 7E0A4505
	v_rcp_f32_e32 v6, v6                                       // 0000000063B0: 7E0C4506
	v_rcp_f32_e32 v7, v7                                       // 0000000063B4: 7E0E4507
	v_mul_f32_e32 v88, v88, v4                                 // 0000000063B8: 0AB00958
	v_mul_f32_e32 v89, v89, v5                                 // 0000000063BC: 0AB20B59
	v_mul_f32_e32 v90, v90, v6                                 // 0000000063C0: 0AB40D5A
	v_mul_f32_e32 v91, v91, v7                                 // 0000000063C4: 0AB60F5B
	v_mul_f32_e32 v88, v88, v152                               // 0000000063C8: 0AB13158
	v_mul_f32_e32 v89, v89, v153                               // 0000000063CC: 0AB33359
	v_mul_f32_e32 v90, v90, v154                               // 0000000063D0: 0AB5355A
	v_mul_f32_e32 v91, v91, v155                               // 0000000063D4: 0AB7375B
	v_pk_mul_f32 v[4:5], v[92:93], v[92:93]                    // 0000000063D8: D3B14004 1802B95C
	v_pk_mul_f32 v[6:7], v[94:95], v[94:95]                    // 0000000063E0: D3B14006 1802BD5E
	v_pk_fma_f32 v[4:5], v[4:5], s[78:79], v[8:9]              // 0000000063E8: D3B04004 1C209D04
	v_pk_fma_f32 v[6:7], v[6:7], s[78:79], v[8:9]              // 0000000063F0: D3B04006 1C209D06
	v_pk_mul_f32 v[4:5], v[4:5], v[92:93]                      // 0000000063F8: D3B14004 1802B904
	v_pk_mul_f32 v[6:7], v[6:7], v[94:95]                      // 000000006400: D3B14006 1802BD06
	v_pk_mul_f32 v[4:5], v[4:5], s[60:61]                      // 000000006408: D3B14004 18007904
	v_pk_mul_f32 v[6:7], v[6:7], s[60:61]                      // 000000006410: D3B14006 18007906
	v_exp_f32_e32 v4, v4                                       // 000000006418: 7E084104
	v_exp_f32_e32 v5, v5                                       // 00000000641C: 7E0A4105
	v_exp_f32_e32 v6, v6                                       // 000000006420: 7E0C4106
	v_exp_f32_e32 v7, v7                                       // 000000006424: 7E0E4107
	v_add_f32_e64 v4, v4, 1.0                                  // 000000006428: D1010004 0001E504
	v_add_f32_e64 v5, v5, 1.0                                  // 000000006430: D1010005 0001E505
	v_add_f32_e64 v6, v6, 1.0                                  // 000000006438: D1010006 0001E506
	v_add_f32_e64 v7, v7, 1.0                                  // 000000006440: D1010007 0001E507
	v_rcp_f32_e32 v4, v4                                       // 000000006448: 7E084504
	v_rcp_f32_e32 v5, v5                                       // 00000000644C: 7E0A4505
	v_rcp_f32_e32 v6, v6                                       // 000000006450: 7E0C4506
	v_rcp_f32_e32 v7, v7                                       // 000000006454: 7E0E4507
	v_mul_f32_e32 v92, v92, v4                                 // 000000006458: 0AB8095C
	v_mul_f32_e32 v93, v93, v5                                 // 00000000645C: 0ABA0B5D
	v_mul_f32_e32 v94, v94, v6                                 // 000000006460: 0ABC0D5E
	v_mul_f32_e32 v95, v95, v7                                 // 000000006464: 0ABE0F5F
	v_mul_f32_e32 v92, v92, v156                               // 000000006468: 0AB9395C
	v_mul_f32_e32 v93, v93, v157                               // 00000000646C: 0ABB3B5D
	v_mul_f32_e32 v94, v94, v158                               // 000000006470: 0ABD3D5E
	v_mul_f32_e32 v95, v95, v159                               // 000000006474: 0ABF3F5F
	v_pk_mul_f32 v[4:5], v[96:97], v[96:97]                    // 000000006478: D3B14004 1802C160
	v_pk_mul_f32 v[6:7], v[98:99], v[98:99]                    // 000000006480: D3B14006 1802C562
	v_pk_fma_f32 v[4:5], v[4:5], s[78:79], v[8:9]              // 000000006488: D3B04004 1C209D04
	v_pk_fma_f32 v[6:7], v[6:7], s[78:79], v[8:9]              // 000000006490: D3B04006 1C209D06
	v_pk_mul_f32 v[4:5], v[4:5], v[96:97]                      // 000000006498: D3B14004 1802C104
	v_pk_mul_f32 v[6:7], v[6:7], v[98:99]                      // 0000000064A0: D3B14006 1802C506
	v_pk_mul_f32 v[4:5], v[4:5], s[60:61]                      // 0000000064A8: D3B14004 18007904
	v_pk_mul_f32 v[6:7], v[6:7], s[60:61]                      // 0000000064B0: D3B14006 18007906
	v_exp_f32_e32 v4, v4                                       // 0000000064B8: 7E084104
	v_exp_f32_e32 v5, v5                                       // 0000000064BC: 7E0A4105
	v_exp_f32_e32 v6, v6                                       // 0000000064C0: 7E0C4106
	v_exp_f32_e32 v7, v7                                       // 0000000064C4: 7E0E4107
	v_add_f32_e64 v4, v4, 1.0                                  // 0000000064C8: D1010004 0001E504
	v_add_f32_e64 v5, v5, 1.0                                  // 0000000064D0: D1010005 0001E505
	v_add_f32_e64 v6, v6, 1.0                                  // 0000000064D8: D1010006 0001E506
	v_add_f32_e64 v7, v7, 1.0                                  // 0000000064E0: D1010007 0001E507
	v_rcp_f32_e32 v4, v4                                       // 0000000064E8: 7E084504
	v_rcp_f32_e32 v5, v5                                       // 0000000064EC: 7E0A4505
	v_rcp_f32_e32 v6, v6                                       // 0000000064F0: 7E0C4506
	v_rcp_f32_e32 v7, v7                                       // 0000000064F4: 7E0E4507
	v_mul_f32_e32 v96, v96, v4                                 // 0000000064F8: 0AC00960
	v_mul_f32_e32 v97, v97, v5                                 // 0000000064FC: 0AC20B61
	v_mul_f32_e32 v98, v98, v6                                 // 000000006500: 0AC40D62
	v_mul_f32_e32 v99, v99, v7                                 // 000000006504: 0AC60F63
	v_mul_f32_e32 v96, v96, v160                               // 000000006508: 0AC14160
	v_mul_f32_e32 v97, v97, v161                               // 00000000650C: 0AC34361
	v_mul_f32_e32 v98, v98, v162                               // 000000006510: 0AC54562
	v_mul_f32_e32 v99, v99, v163                               // 000000006514: 0AC74763
	v_pk_mul_f32 v[4:5], v[100:101], v[100:101]                // 000000006518: D3B14004 1802C964
	v_pk_mul_f32 v[6:7], v[102:103], v[102:103]                // 000000006520: D3B14006 1802CD66
	v_pk_fma_f32 v[4:5], v[4:5], s[78:79], v[8:9]              // 000000006528: D3B04004 1C209D04
	v_pk_fma_f32 v[6:7], v[6:7], s[78:79], v[8:9]              // 000000006530: D3B04006 1C209D06
	v_pk_mul_f32 v[4:5], v[4:5], v[100:101]                    // 000000006538: D3B14004 1802C904
	v_pk_mul_f32 v[6:7], v[6:7], v[102:103]                    // 000000006540: D3B14006 1802CD06
	v_pk_mul_f32 v[4:5], v[4:5], s[60:61]                      // 000000006548: D3B14004 18007904
	v_pk_mul_f32 v[6:7], v[6:7], s[60:61]                      // 000000006550: D3B14006 18007906
	v_exp_f32_e32 v4, v4                                       // 000000006558: 7E084104
	v_exp_f32_e32 v5, v5                                       // 00000000655C: 7E0A4105
	v_exp_f32_e32 v6, v6                                       // 000000006560: 7E0C4106
	v_exp_f32_e32 v7, v7                                       // 000000006564: 7E0E4107
	v_add_f32_e64 v4, v4, 1.0                                  // 000000006568: D1010004 0001E504
	v_add_f32_e64 v5, v5, 1.0                                  // 000000006570: D1010005 0001E505
	v_add_f32_e64 v6, v6, 1.0                                  // 000000006578: D1010006 0001E506
	v_add_f32_e64 v7, v7, 1.0                                  // 000000006580: D1010007 0001E507
	v_rcp_f32_e32 v4, v4                                       // 000000006588: 7E084504
	v_rcp_f32_e32 v5, v5                                       // 00000000658C: 7E0A4505
	v_rcp_f32_e32 v6, v6                                       // 000000006590: 7E0C4506
	v_rcp_f32_e32 v7, v7                                       // 000000006594: 7E0E4507
	v_mul_f32_e32 v100, v100, v4                               // 000000006598: 0AC80964
	v_mul_f32_e32 v101, v101, v5                               // 00000000659C: 0ACA0B65
	v_mul_f32_e32 v102, v102, v6                               // 0000000065A0: 0ACC0D66
	v_mul_f32_e32 v103, v103, v7                               // 0000000065A4: 0ACE0F67
	v_mul_f32_e32 v100, v100, v164                             // 0000000065A8: 0AC94964
	v_mul_f32_e32 v101, v101, v165                             // 0000000065AC: 0ACB4B65
	v_mul_f32_e32 v102, v102, v166                             // 0000000065B0: 0ACD4D66
	v_mul_f32_e32 v103, v103, v167                             // 0000000065B4: 0ACF4F67
	v_pk_mul_f32 v[4:5], v[104:105], v[104:105]                // 0000000065B8: D3B14004 1802D168
	v_pk_mul_f32 v[6:7], v[106:107], v[106:107]                // 0000000065C0: D3B14006 1802D56A
	v_pk_fma_f32 v[4:5], v[4:5], s[78:79], v[8:9]              // 0000000065C8: D3B04004 1C209D04
	v_pk_fma_f32 v[6:7], v[6:7], s[78:79], v[8:9]              // 0000000065D0: D3B04006 1C209D06
	v_pk_mul_f32 v[4:5], v[4:5], v[104:105]                    // 0000000065D8: D3B14004 1802D104
	v_pk_mul_f32 v[6:7], v[6:7], v[106:107]                    // 0000000065E0: D3B14006 1802D506
	v_pk_mul_f32 v[4:5], v[4:5], s[60:61]                      // 0000000065E8: D3B14004 18007904
	v_pk_mul_f32 v[6:7], v[6:7], s[60:61]                      // 0000000065F0: D3B14006 18007906
	v_exp_f32_e32 v4, v4                                       // 0000000065F8: 7E084104
	v_exp_f32_e32 v5, v5                                       // 0000000065FC: 7E0A4105
	v_exp_f32_e32 v6, v6                                       // 000000006600: 7E0C4106
	v_exp_f32_e32 v7, v7                                       // 000000006604: 7E0E4107
	v_add_f32_e64 v4, v4, 1.0                                  // 000000006608: D1010004 0001E504
	v_add_f32_e64 v5, v5, 1.0                                  // 000000006610: D1010005 0001E505
	v_add_f32_e64 v6, v6, 1.0                                  // 000000006618: D1010006 0001E506
	v_add_f32_e64 v7, v7, 1.0                                  // 000000006620: D1010007 0001E507
	v_rcp_f32_e32 v4, v4                                       // 000000006628: 7E084504
	v_rcp_f32_e32 v5, v5                                       // 00000000662C: 7E0A4505
	v_rcp_f32_e32 v6, v6                                       // 000000006630: 7E0C4506
	v_rcp_f32_e32 v7, v7                                       // 000000006634: 7E0E4507
	v_mul_f32_e32 v104, v104, v4                               // 000000006638: 0AD00968
	v_mul_f32_e32 v105, v105, v5                               // 00000000663C: 0AD20B69
	v_mul_f32_e32 v106, v106, v6                               // 000000006640: 0AD40D6A
	v_mul_f32_e32 v107, v107, v7                               // 000000006644: 0AD60F6B
	v_mul_f32_e32 v104, v104, v168                             // 000000006648: 0AD15168
	v_mul_f32_e32 v105, v105, v169                             // 00000000664C: 0AD35369
	v_mul_f32_e32 v106, v106, v170                             // 000000006650: 0AD5556A
	v_mul_f32_e32 v107, v107, v171                             // 000000006654: 0AD7576B
	v_pk_mul_f32 v[4:5], v[108:109], v[108:109]                // 000000006658: D3B14004 1802D96C
	v_pk_mul_f32 v[6:7], v[110:111], v[110:111]                // 000000006660: D3B14006 1802DD6E
	v_pk_fma_f32 v[4:5], v[4:5], s[78:79], v[8:9]              // 000000006668: D3B04004 1C209D04
	v_pk_fma_f32 v[6:7], v[6:7], s[78:79], v[8:9]              // 000000006670: D3B04006 1C209D06
	v_pk_mul_f32 v[4:5], v[4:5], v[108:109]                    // 000000006678: D3B14004 1802D904
	v_pk_mul_f32 v[6:7], v[6:7], v[110:111]                    // 000000006680: D3B14006 1802DD06
	v_pk_mul_f32 v[4:5], v[4:5], s[60:61]                      // 000000006688: D3B14004 18007904
	v_pk_mul_f32 v[6:7], v[6:7], s[60:61]                      // 000000006690: D3B14006 18007906
	v_exp_f32_e32 v4, v4                                       // 000000006698: 7E084104
	v_exp_f32_e32 v5, v5                                       // 00000000669C: 7E0A4105
	v_exp_f32_e32 v6, v6                                       // 0000000066A0: 7E0C4106
	v_exp_f32_e32 v7, v7                                       // 0000000066A4: 7E0E4107
	v_add_f32_e64 v4, v4, 1.0                                  // 0000000066A8: D1010004 0001E504
	v_add_f32_e64 v5, v5, 1.0                                  // 0000000066B0: D1010005 0001E505
	v_add_f32_e64 v6, v6, 1.0                                  // 0000000066B8: D1010006 0001E506
	v_add_f32_e64 v7, v7, 1.0                                  // 0000000066C0: D1010007 0001E507
	v_rcp_f32_e32 v4, v4                                       // 0000000066C8: 7E084504
	v_rcp_f32_e32 v5, v5                                       // 0000000066CC: 7E0A4505
	v_rcp_f32_e32 v6, v6                                       // 0000000066D0: 7E0C4506
	v_rcp_f32_e32 v7, v7                                       // 0000000066D4: 7E0E4507
	v_mul_f32_e32 v108, v108, v4                               // 0000000066D8: 0AD8096C
	v_mul_f32_e32 v109, v109, v5                               // 0000000066DC: 0ADA0B6D
	v_mul_f32_e32 v110, v110, v6                               // 0000000066E0: 0ADC0D6E
	v_mul_f32_e32 v111, v111, v7                               // 0000000066E4: 0ADE0F6F
	v_mul_f32_e32 v108, v108, v172                             // 0000000066E8: 0AD9596C
	v_mul_f32_e32 v109, v109, v173                             // 0000000066EC: 0ADB5B6D
	v_mul_f32_e32 v110, v110, v174                             // 0000000066F0: 0ADD5D6E
	v_mul_f32_e32 v111, v111, v175                             // 0000000066F4: 0ADF5F6F
	v_pk_mul_f32 v[4:5], v[112:113], v[112:113]                // 0000000066F8: D3B14004 1802E170
	v_pk_mul_f32 v[6:7], v[114:115], v[114:115]                // 000000006700: D3B14006 1802E572
	v_pk_fma_f32 v[4:5], v[4:5], s[78:79], v[8:9]              // 000000006708: D3B04004 1C209D04
	v_pk_fma_f32 v[6:7], v[6:7], s[78:79], v[8:9]              // 000000006710: D3B04006 1C209D06
	v_pk_mul_f32 v[4:5], v[4:5], v[112:113]                    // 000000006718: D3B14004 1802E104
	v_pk_mul_f32 v[6:7], v[6:7], v[114:115]                    // 000000006720: D3B14006 1802E506
	v_pk_mul_f32 v[4:5], v[4:5], s[60:61]                      // 000000006728: D3B14004 18007904
	v_pk_mul_f32 v[6:7], v[6:7], s[60:61]                      // 000000006730: D3B14006 18007906
	v_exp_f32_e32 v4, v4                                       // 000000006738: 7E084104
	v_exp_f32_e32 v5, v5                                       // 00000000673C: 7E0A4105
	v_exp_f32_e32 v6, v6                                       // 000000006740: 7E0C4106
	v_exp_f32_e32 v7, v7                                       // 000000006744: 7E0E4107
	v_add_f32_e64 v4, v4, 1.0                                  // 000000006748: D1010004 0001E504
	v_add_f32_e64 v5, v5, 1.0                                  // 000000006750: D1010005 0001E505
	v_add_f32_e64 v6, v6, 1.0                                  // 000000006758: D1010006 0001E506
	v_add_f32_e64 v7, v7, 1.0                                  // 000000006760: D1010007 0001E507
	v_rcp_f32_e32 v4, v4                                       // 000000006768: 7E084504
	v_rcp_f32_e32 v5, v5                                       // 00000000676C: 7E0A4505
	v_rcp_f32_e32 v6, v6                                       // 000000006770: 7E0C4506
	v_rcp_f32_e32 v7, v7                                       // 000000006774: 7E0E4507
	v_mul_f32_e32 v112, v112, v4                               // 000000006778: 0AE00970
	v_mul_f32_e32 v113, v113, v5                               // 00000000677C: 0AE20B71
	v_mul_f32_e32 v114, v114, v6                               // 000000006780: 0AE40D72
	v_mul_f32_e32 v115, v115, v7                               // 000000006784: 0AE60F73
	v_mul_f32_e32 v112, v112, v176                             // 000000006788: 0AE16170
	v_mul_f32_e32 v113, v113, v177                             // 00000000678C: 0AE36371
	v_mul_f32_e32 v114, v114, v178                             // 000000006790: 0AE56572
	v_mul_f32_e32 v115, v115, v179                             // 000000006794: 0AE76773
	v_pk_mul_f32 v[4:5], v[116:117], v[116:117]                // 000000006798: D3B14004 1802E974
	v_pk_mul_f32 v[6:7], v[118:119], v[118:119]                // 0000000067A0: D3B14006 1802ED76
	v_pk_fma_f32 v[4:5], v[4:5], s[78:79], v[8:9]              // 0000000067A8: D3B04004 1C209D04
	v_pk_fma_f32 v[6:7], v[6:7], s[78:79], v[8:9]              // 0000000067B0: D3B04006 1C209D06
	v_pk_mul_f32 v[4:5], v[4:5], v[116:117]                    // 0000000067B8: D3B14004 1802E904
	v_pk_mul_f32 v[6:7], v[6:7], v[118:119]                    // 0000000067C0: D3B14006 1802ED06
	v_pk_mul_f32 v[4:5], v[4:5], s[60:61]                      // 0000000067C8: D3B14004 18007904
	v_pk_mul_f32 v[6:7], v[6:7], s[60:61]                      // 0000000067D0: D3B14006 18007906
	v_exp_f32_e32 v4, v4                                       // 0000000067D8: 7E084104
	v_exp_f32_e32 v5, v5                                       // 0000000067DC: 7E0A4105
	v_exp_f32_e32 v6, v6                                       // 0000000067E0: 7E0C4106
	v_exp_f32_e32 v7, v7                                       // 0000000067E4: 7E0E4107
	v_add_f32_e64 v4, v4, 1.0                                  // 0000000067E8: D1010004 0001E504
	v_add_f32_e64 v5, v5, 1.0                                  // 0000000067F0: D1010005 0001E505
	v_add_f32_e64 v6, v6, 1.0                                  // 0000000067F8: D1010006 0001E506
	v_add_f32_e64 v7, v7, 1.0                                  // 000000006800: D1010007 0001E507
	v_rcp_f32_e32 v4, v4                                       // 000000006808: 7E084504
	v_rcp_f32_e32 v5, v5                                       // 00000000680C: 7E0A4505
	v_rcp_f32_e32 v6, v6                                       // 000000006810: 7E0C4506
	v_rcp_f32_e32 v7, v7                                       // 000000006814: 7E0E4507
	v_mul_f32_e32 v116, v116, v4                               // 000000006818: 0AE80974
	v_mul_f32_e32 v117, v117, v5                               // 00000000681C: 0AEA0B75
	v_mul_f32_e32 v118, v118, v6                               // 000000006820: 0AEC0D76
	v_mul_f32_e32 v119, v119, v7                               // 000000006824: 0AEE0F77
	v_mul_f32_e32 v116, v116, v180                             // 000000006828: 0AE96974
	v_mul_f32_e32 v117, v117, v181                             // 00000000682C: 0AEB6B75
	v_mul_f32_e32 v118, v118, v182                             // 000000006830: 0AED6D76
	v_mul_f32_e32 v119, v119, v183                             // 000000006834: 0AEF6F77
	v_pk_mul_f32 v[4:5], v[120:121], v[120:121]                // 000000006838: D3B14004 1802F178
	v_pk_mul_f32 v[6:7], v[122:123], v[122:123]                // 000000006840: D3B14006 1802F57A
	v_pk_fma_f32 v[4:5], v[4:5], s[78:79], v[8:9]              // 000000006848: D3B04004 1C209D04
	v_pk_fma_f32 v[6:7], v[6:7], s[78:79], v[8:9]              // 000000006850: D3B04006 1C209D06
	v_pk_mul_f32 v[4:5], v[4:5], v[120:121]                    // 000000006858: D3B14004 1802F104
	v_pk_mul_f32 v[6:7], v[6:7], v[122:123]                    // 000000006860: D3B14006 1802F506
	v_pk_mul_f32 v[4:5], v[4:5], s[60:61]                      // 000000006868: D3B14004 18007904
	v_pk_mul_f32 v[6:7], v[6:7], s[60:61]                      // 000000006870: D3B14006 18007906
	v_exp_f32_e32 v4, v4                                       // 000000006878: 7E084104
	v_exp_f32_e32 v5, v5                                       // 00000000687C: 7E0A4105
	v_exp_f32_e32 v6, v6                                       // 000000006880: 7E0C4106
	v_exp_f32_e32 v7, v7                                       // 000000006884: 7E0E4107
	v_add_f32_e64 v4, v4, 1.0                                  // 000000006888: D1010004 0001E504
	v_add_f32_e64 v5, v5, 1.0                                  // 000000006890: D1010005 0001E505
	v_add_f32_e64 v6, v6, 1.0                                  // 000000006898: D1010006 0001E506
	v_add_f32_e64 v7, v7, 1.0                                  // 0000000068A0: D1010007 0001E507
	v_rcp_f32_e32 v4, v4                                       // 0000000068A8: 7E084504
	v_rcp_f32_e32 v5, v5                                       // 0000000068AC: 7E0A4505
	v_rcp_f32_e32 v6, v6                                       // 0000000068B0: 7E0C4506
	v_rcp_f32_e32 v7, v7                                       // 0000000068B4: 7E0E4507
	v_mul_f32_e32 v120, v120, v4                               // 0000000068B8: 0AF00978
	v_mul_f32_e32 v121, v121, v5                               // 0000000068BC: 0AF20B79
	v_mul_f32_e32 v122, v122, v6                               // 0000000068C0: 0AF40D7A
	v_mul_f32_e32 v123, v123, v7                               // 0000000068C4: 0AF60F7B
	v_mul_f32_e32 v120, v120, v184                             // 0000000068C8: 0AF17178
	v_mul_f32_e32 v121, v121, v185                             // 0000000068CC: 0AF37379
	v_mul_f32_e32 v122, v122, v186                             // 0000000068D0: 0AF5757A
	v_mul_f32_e32 v123, v123, v187                             // 0000000068D4: 0AF7777B
	s_branch label_11B7                                        // 0000000068D8: BF820200

00000000000068dc <label_0FB7>:
	v_mul_f32_e64 v4, -v60, s6                                 // 0000000068DC: D1050004 20000D3C
	v_mul_f32_e64 v5, -v61, s6                                 // 0000000068E4: D1050005 20000D3D
	v_mul_f32_e64 v6, -v62, s6                                 // 0000000068EC: D1050006 20000D3E
	v_mul_f32_e64 v7, -v63, s6                                 // 0000000068F4: D1050007 20000D3F
	v_exp_f32_e32 v4, v4                                       // 0000000068FC: 7E084104
	v_exp_f32_e32 v5, v5                                       // 000000006900: 7E0A4105
	v_exp_f32_e32 v6, v6                                       // 000000006904: 7E0C4106
	v_exp_f32_e32 v7, v7                                       // 000000006908: 7E0E4107
	v_add_f32_e64 v4, v4, 1.0                                  // 00000000690C: D1010004 0001E504
	v_add_f32_e64 v5, v5, 1.0                                  // 000000006914: D1010005 0001E505
	v_add_f32_e64 v6, v6, 1.0                                  // 00000000691C: D1010006 0001E506
	v_add_f32_e64 v7, v7, 1.0                                  // 000000006924: D1010007 0001E507
	v_rcp_f32_e32 v4, v4                                       // 00000000692C: 7E084504
	v_rcp_f32_e32 v5, v5                                       // 000000006930: 7E0A4505
	v_rcp_f32_e32 v6, v6                                       // 000000006934: 7E0C4506
	v_rcp_f32_e32 v7, v7                                       // 000000006938: 7E0E4507
	v_mul_f32_e32 v60, v60, v4                                 // 00000000693C: 0A78093C
	v_mul_f32_e32 v61, v61, v5                                 // 000000006940: 0A7A0B3D
	v_mul_f32_e32 v62, v62, v6                                 // 000000006944: 0A7C0D3E
	v_mul_f32_e32 v63, v63, v7                                 // 000000006948: 0A7E0F3F
	v_mul_f32_e32 v60, v60, v124                               // 00000000694C: 0A78F93C
	v_mul_f32_e32 v61, v61, v125                               // 000000006950: 0A7AFB3D
	v_mul_f32_e32 v62, v62, v126                               // 000000006954: 0A7CFD3E
	v_mul_f32_e32 v63, v63, v127                               // 000000006958: 0A7EFF3F
	v_mul_f32_e64 v4, -v64, s6                                 // 00000000695C: D1050004 20000D40
	v_mul_f32_e64 v5, -v65, s6                                 // 000000006964: D1050005 20000D41
	v_mul_f32_e64 v6, -v66, s6                                 // 00000000696C: D1050006 20000D42
	v_mul_f32_e64 v7, -v67, s6                                 // 000000006974: D1050007 20000D43
	v_exp_f32_e32 v4, v4                                       // 00000000697C: 7E084104
	v_exp_f32_e32 v5, v5                                       // 000000006980: 7E0A4105
	v_exp_f32_e32 v6, v6                                       // 000000006984: 7E0C4106
	v_exp_f32_e32 v7, v7                                       // 000000006988: 7E0E4107
	v_add_f32_e64 v4, v4, 1.0                                  // 00000000698C: D1010004 0001E504
	v_add_f32_e64 v5, v5, 1.0                                  // 000000006994: D1010005 0001E505
	v_add_f32_e64 v6, v6, 1.0                                  // 00000000699C: D1010006 0001E506
	v_add_f32_e64 v7, v7, 1.0                                  // 0000000069A4: D1010007 0001E507
	v_rcp_f32_e32 v4, v4                                       // 0000000069AC: 7E084504
	v_rcp_f32_e32 v5, v5                                       // 0000000069B0: 7E0A4505
	v_rcp_f32_e32 v6, v6                                       // 0000000069B4: 7E0C4506
	v_rcp_f32_e32 v7, v7                                       // 0000000069B8: 7E0E4507
	v_mul_f32_e32 v64, v64, v4                                 // 0000000069BC: 0A800940
	v_mul_f32_e32 v65, v65, v5                                 // 0000000069C0: 0A820B41
	v_mul_f32_e32 v66, v66, v6                                 // 0000000069C4: 0A840D42
	v_mul_f32_e32 v67, v67, v7                                 // 0000000069C8: 0A860F43
	v_mul_f32_e32 v64, v64, v128                               // 0000000069CC: 0A810140
	v_mul_f32_e32 v65, v65, v129                               // 0000000069D0: 0A830341
	v_mul_f32_e32 v66, v66, v130                               // 0000000069D4: 0A850542
	v_mul_f32_e32 v67, v67, v131                               // 0000000069D8: 0A870743
	v_mul_f32_e64 v4, -v68, s6                                 // 0000000069DC: D1050004 20000D44
	v_mul_f32_e64 v5, -v69, s6                                 // 0000000069E4: D1050005 20000D45
	v_mul_f32_e64 v6, -v70, s6                                 // 0000000069EC: D1050006 20000D46
	v_mul_f32_e64 v7, -v71, s6                                 // 0000000069F4: D1050007 20000D47
	v_exp_f32_e32 v4, v4                                       // 0000000069FC: 7E084104
	v_exp_f32_e32 v5, v5                                       // 000000006A00: 7E0A4105
	v_exp_f32_e32 v6, v6                                       // 000000006A04: 7E0C4106
	v_exp_f32_e32 v7, v7                                       // 000000006A08: 7E0E4107
	v_add_f32_e64 v4, v4, 1.0                                  // 000000006A0C: D1010004 0001E504
	v_add_f32_e64 v5, v5, 1.0                                  // 000000006A14: D1010005 0001E505
	v_add_f32_e64 v6, v6, 1.0                                  // 000000006A1C: D1010006 0001E506
	v_add_f32_e64 v7, v7, 1.0                                  // 000000006A24: D1010007 0001E507
	v_rcp_f32_e32 v4, v4                                       // 000000006A2C: 7E084504
	v_rcp_f32_e32 v5, v5                                       // 000000006A30: 7E0A4505
	v_rcp_f32_e32 v6, v6                                       // 000000006A34: 7E0C4506
	v_rcp_f32_e32 v7, v7                                       // 000000006A38: 7E0E4507
	v_mul_f32_e32 v68, v68, v4                                 // 000000006A3C: 0A880944
	v_mul_f32_e32 v69, v69, v5                                 // 000000006A40: 0A8A0B45
	v_mul_f32_e32 v70, v70, v6                                 // 000000006A44: 0A8C0D46
	v_mul_f32_e32 v71, v71, v7                                 // 000000006A48: 0A8E0F47
	v_mul_f32_e32 v68, v68, v132                               // 000000006A4C: 0A890944
	v_mul_f32_e32 v69, v69, v133                               // 000000006A50: 0A8B0B45
	v_mul_f32_e32 v70, v70, v134                               // 000000006A54: 0A8D0D46
	v_mul_f32_e32 v71, v71, v135                               // 000000006A58: 0A8F0F47
	v_mul_f32_e64 v4, -v72, s6                                 // 000000006A5C: D1050004 20000D48
	v_mul_f32_e64 v5, -v73, s6                                 // 000000006A64: D1050005 20000D49
	v_mul_f32_e64 v6, -v74, s6                                 // 000000006A6C: D1050006 20000D4A
	v_mul_f32_e64 v7, -v75, s6                                 // 000000006A74: D1050007 20000D4B
	v_exp_f32_e32 v4, v4                                       // 000000006A7C: 7E084104
	v_exp_f32_e32 v5, v5                                       // 000000006A80: 7E0A4105
	v_exp_f32_e32 v6, v6                                       // 000000006A84: 7E0C4106
	v_exp_f32_e32 v7, v7                                       // 000000006A88: 7E0E4107
	v_add_f32_e64 v4, v4, 1.0                                  // 000000006A8C: D1010004 0001E504
	v_add_f32_e64 v5, v5, 1.0                                  // 000000006A94: D1010005 0001E505
	v_add_f32_e64 v6, v6, 1.0                                  // 000000006A9C: D1010006 0001E506
	v_add_f32_e64 v7, v7, 1.0                                  // 000000006AA4: D1010007 0001E507
	v_rcp_f32_e32 v4, v4                                       // 000000006AAC: 7E084504
	v_rcp_f32_e32 v5, v5                                       // 000000006AB0: 7E0A4505
	v_rcp_f32_e32 v6, v6                                       // 000000006AB4: 7E0C4506
	v_rcp_f32_e32 v7, v7                                       // 000000006AB8: 7E0E4507
	v_mul_f32_e32 v72, v72, v4                                 // 000000006ABC: 0A900948
	v_mul_f32_e32 v73, v73, v5                                 // 000000006AC0: 0A920B49
	v_mul_f32_e32 v74, v74, v6                                 // 000000006AC4: 0A940D4A
	v_mul_f32_e32 v75, v75, v7                                 // 000000006AC8: 0A960F4B
	v_mul_f32_e32 v72, v72, v136                               // 000000006ACC: 0A911148
	v_mul_f32_e32 v73, v73, v137                               // 000000006AD0: 0A931349
	v_mul_f32_e32 v74, v74, v138                               // 000000006AD4: 0A95154A
	v_mul_f32_e32 v75, v75, v139                               // 000000006AD8: 0A97174B
	v_mul_f32_e64 v4, -v76, s6                                 // 000000006ADC: D1050004 20000D4C
	v_mul_f32_e64 v5, -v77, s6                                 // 000000006AE4: D1050005 20000D4D
	v_mul_f32_e64 v6, -v78, s6                                 // 000000006AEC: D1050006 20000D4E
	v_mul_f32_e64 v7, -v79, s6                                 // 000000006AF4: D1050007 20000D4F
	v_exp_f32_e32 v4, v4                                       // 000000006AFC: 7E084104
	v_exp_f32_e32 v5, v5                                       // 000000006B00: 7E0A4105
	v_exp_f32_e32 v6, v6                                       // 000000006B04: 7E0C4106
	v_exp_f32_e32 v7, v7                                       // 000000006B08: 7E0E4107
	v_add_f32_e64 v4, v4, 1.0                                  // 000000006B0C: D1010004 0001E504
	v_add_f32_e64 v5, v5, 1.0                                  // 000000006B14: D1010005 0001E505
	v_add_f32_e64 v6, v6, 1.0                                  // 000000006B1C: D1010006 0001E506
	v_add_f32_e64 v7, v7, 1.0                                  // 000000006B24: D1010007 0001E507
	v_rcp_f32_e32 v4, v4                                       // 000000006B2C: 7E084504
	v_rcp_f32_e32 v5, v5                                       // 000000006B30: 7E0A4505
	v_rcp_f32_e32 v6, v6                                       // 000000006B34: 7E0C4506
	v_rcp_f32_e32 v7, v7                                       // 000000006B38: 7E0E4507
	v_mul_f32_e32 v76, v76, v4                                 // 000000006B3C: 0A98094C
	v_mul_f32_e32 v77, v77, v5                                 // 000000006B40: 0A9A0B4D
	v_mul_f32_e32 v78, v78, v6                                 // 000000006B44: 0A9C0D4E
	v_mul_f32_e32 v79, v79, v7                                 // 000000006B48: 0A9E0F4F
	v_mul_f32_e32 v76, v76, v140                               // 000000006B4C: 0A99194C
	v_mul_f32_e32 v77, v77, v141                               // 000000006B50: 0A9B1B4D
	v_mul_f32_e32 v78, v78, v142                               // 000000006B54: 0A9D1D4E
	v_mul_f32_e32 v79, v79, v143                               // 000000006B58: 0A9F1F4F
	v_mul_f32_e64 v4, -v80, s6                                 // 000000006B5C: D1050004 20000D50
	v_mul_f32_e64 v5, -v81, s6                                 // 000000006B64: D1050005 20000D51
	v_mul_f32_e64 v6, -v82, s6                                 // 000000006B6C: D1050006 20000D52
	v_mul_f32_e64 v7, -v83, s6                                 // 000000006B74: D1050007 20000D53
	v_exp_f32_e32 v4, v4                                       // 000000006B7C: 7E084104
	v_exp_f32_e32 v5, v5                                       // 000000006B80: 7E0A4105
	v_exp_f32_e32 v6, v6                                       // 000000006B84: 7E0C4106
	v_exp_f32_e32 v7, v7                                       // 000000006B88: 7E0E4107
	v_add_f32_e64 v4, v4, 1.0                                  // 000000006B8C: D1010004 0001E504
	v_add_f32_e64 v5, v5, 1.0                                  // 000000006B94: D1010005 0001E505
	v_add_f32_e64 v6, v6, 1.0                                  // 000000006B9C: D1010006 0001E506
	v_add_f32_e64 v7, v7, 1.0                                  // 000000006BA4: D1010007 0001E507
	v_rcp_f32_e32 v4, v4                                       // 000000006BAC: 7E084504
	v_rcp_f32_e32 v5, v5                                       // 000000006BB0: 7E0A4505
	v_rcp_f32_e32 v6, v6                                       // 000000006BB4: 7E0C4506
	v_rcp_f32_e32 v7, v7                                       // 000000006BB8: 7E0E4507
	v_mul_f32_e32 v80, v80, v4                                 // 000000006BBC: 0AA00950
	v_mul_f32_e32 v81, v81, v5                                 // 000000006BC0: 0AA20B51
	v_mul_f32_e32 v82, v82, v6                                 // 000000006BC4: 0AA40D52
	v_mul_f32_e32 v83, v83, v7                                 // 000000006BC8: 0AA60F53
	v_mul_f32_e32 v80, v80, v144                               // 000000006BCC: 0AA12150
	v_mul_f32_e32 v81, v81, v145                               // 000000006BD0: 0AA32351
	v_mul_f32_e32 v82, v82, v146                               // 000000006BD4: 0AA52552
	v_mul_f32_e32 v83, v83, v147                               // 000000006BD8: 0AA72753
	v_mul_f32_e64 v4, -v84, s6                                 // 000000006BDC: D1050004 20000D54
	v_mul_f32_e64 v5, -v85, s6                                 // 000000006BE4: D1050005 20000D55
	v_mul_f32_e64 v6, -v86, s6                                 // 000000006BEC: D1050006 20000D56
	v_mul_f32_e64 v7, -v87, s6                                 // 000000006BF4: D1050007 20000D57
	v_exp_f32_e32 v4, v4                                       // 000000006BFC: 7E084104
	v_exp_f32_e32 v5, v5                                       // 000000006C00: 7E0A4105
	v_exp_f32_e32 v6, v6                                       // 000000006C04: 7E0C4106
	v_exp_f32_e32 v7, v7                                       // 000000006C08: 7E0E4107
	v_add_f32_e64 v4, v4, 1.0                                  // 000000006C0C: D1010004 0001E504
	v_add_f32_e64 v5, v5, 1.0                                  // 000000006C14: D1010005 0001E505
	v_add_f32_e64 v6, v6, 1.0                                  // 000000006C1C: D1010006 0001E506
	v_add_f32_e64 v7, v7, 1.0                                  // 000000006C24: D1010007 0001E507
	v_rcp_f32_e32 v4, v4                                       // 000000006C2C: 7E084504
	v_rcp_f32_e32 v5, v5                                       // 000000006C30: 7E0A4505
	v_rcp_f32_e32 v6, v6                                       // 000000006C34: 7E0C4506
	v_rcp_f32_e32 v7, v7                                       // 000000006C38: 7E0E4507
	v_mul_f32_e32 v84, v84, v4                                 // 000000006C3C: 0AA80954
	v_mul_f32_e32 v85, v85, v5                                 // 000000006C40: 0AAA0B55
	v_mul_f32_e32 v86, v86, v6                                 // 000000006C44: 0AAC0D56
	v_mul_f32_e32 v87, v87, v7                                 // 000000006C48: 0AAE0F57
	v_mul_f32_e32 v84, v84, v148                               // 000000006C4C: 0AA92954
	v_mul_f32_e32 v85, v85, v149                               // 000000006C50: 0AAB2B55
	v_mul_f32_e32 v86, v86, v150                               // 000000006C54: 0AAD2D56
	v_mul_f32_e32 v87, v87, v151                               // 000000006C58: 0AAF2F57
	v_mul_f32_e64 v4, -v88, s6                                 // 000000006C5C: D1050004 20000D58
	v_mul_f32_e64 v5, -v89, s6                                 // 000000006C64: D1050005 20000D59
	v_mul_f32_e64 v6, -v90, s6                                 // 000000006C6C: D1050006 20000D5A
	v_mul_f32_e64 v7, -v91, s6                                 // 000000006C74: D1050007 20000D5B
	v_exp_f32_e32 v4, v4                                       // 000000006C7C: 7E084104
	v_exp_f32_e32 v5, v5                                       // 000000006C80: 7E0A4105
	v_exp_f32_e32 v6, v6                                       // 000000006C84: 7E0C4106
	v_exp_f32_e32 v7, v7                                       // 000000006C88: 7E0E4107
	v_add_f32_e64 v4, v4, 1.0                                  // 000000006C8C: D1010004 0001E504
	v_add_f32_e64 v5, v5, 1.0                                  // 000000006C94: D1010005 0001E505
	v_add_f32_e64 v6, v6, 1.0                                  // 000000006C9C: D1010006 0001E506
	v_add_f32_e64 v7, v7, 1.0                                  // 000000006CA4: D1010007 0001E507
	v_rcp_f32_e32 v4, v4                                       // 000000006CAC: 7E084504
	v_rcp_f32_e32 v5, v5                                       // 000000006CB0: 7E0A4505
	v_rcp_f32_e32 v6, v6                                       // 000000006CB4: 7E0C4506
	v_rcp_f32_e32 v7, v7                                       // 000000006CB8: 7E0E4507
	v_mul_f32_e32 v88, v88, v4                                 // 000000006CBC: 0AB00958
	v_mul_f32_e32 v89, v89, v5                                 // 000000006CC0: 0AB20B59
	v_mul_f32_e32 v90, v90, v6                                 // 000000006CC4: 0AB40D5A
	v_mul_f32_e32 v91, v91, v7                                 // 000000006CC8: 0AB60F5B
	v_mul_f32_e32 v88, v88, v152                               // 000000006CCC: 0AB13158
	v_mul_f32_e32 v89, v89, v153                               // 000000006CD0: 0AB33359
	v_mul_f32_e32 v90, v90, v154                               // 000000006CD4: 0AB5355A
	v_mul_f32_e32 v91, v91, v155                               // 000000006CD8: 0AB7375B
	v_mul_f32_e64 v4, -v92, s6                                 // 000000006CDC: D1050004 20000D5C
	v_mul_f32_e64 v5, -v93, s6                                 // 000000006CE4: D1050005 20000D5D
	v_mul_f32_e64 v6, -v94, s6                                 // 000000006CEC: D1050006 20000D5E
	v_mul_f32_e64 v7, -v95, s6                                 // 000000006CF4: D1050007 20000D5F
	v_exp_f32_e32 v4, v4                                       // 000000006CFC: 7E084104
	v_exp_f32_e32 v5, v5                                       // 000000006D00: 7E0A4105
	v_exp_f32_e32 v6, v6                                       // 000000006D04: 7E0C4106
	v_exp_f32_e32 v7, v7                                       // 000000006D08: 7E0E4107
	v_add_f32_e64 v4, v4, 1.0                                  // 000000006D0C: D1010004 0001E504
	v_add_f32_e64 v5, v5, 1.0                                  // 000000006D14: D1010005 0001E505
	v_add_f32_e64 v6, v6, 1.0                                  // 000000006D1C: D1010006 0001E506
	v_add_f32_e64 v7, v7, 1.0                                  // 000000006D24: D1010007 0001E507
	v_rcp_f32_e32 v4, v4                                       // 000000006D2C: 7E084504
	v_rcp_f32_e32 v5, v5                                       // 000000006D30: 7E0A4505
	v_rcp_f32_e32 v6, v6                                       // 000000006D34: 7E0C4506
	v_rcp_f32_e32 v7, v7                                       // 000000006D38: 7E0E4507
	v_mul_f32_e32 v92, v92, v4                                 // 000000006D3C: 0AB8095C
	v_mul_f32_e32 v93, v93, v5                                 // 000000006D40: 0ABA0B5D
	v_mul_f32_e32 v94, v94, v6                                 // 000000006D44: 0ABC0D5E
	v_mul_f32_e32 v95, v95, v7                                 // 000000006D48: 0ABE0F5F
	v_mul_f32_e32 v92, v92, v156                               // 000000006D4C: 0AB9395C
	v_mul_f32_e32 v93, v93, v157                               // 000000006D50: 0ABB3B5D
	v_mul_f32_e32 v94, v94, v158                               // 000000006D54: 0ABD3D5E
	v_mul_f32_e32 v95, v95, v159                               // 000000006D58: 0ABF3F5F
	v_mul_f32_e64 v4, -v96, s6                                 // 000000006D5C: D1050004 20000D60
	v_mul_f32_e64 v5, -v97, s6                                 // 000000006D64: D1050005 20000D61
	v_mul_f32_e64 v6, -v98, s6                                 // 000000006D6C: D1050006 20000D62
	v_mul_f32_e64 v7, -v99, s6                                 // 000000006D74: D1050007 20000D63
	v_exp_f32_e32 v4, v4                                       // 000000006D7C: 7E084104
	v_exp_f32_e32 v5, v5                                       // 000000006D80: 7E0A4105
	v_exp_f32_e32 v6, v6                                       // 000000006D84: 7E0C4106
	v_exp_f32_e32 v7, v7                                       // 000000006D88: 7E0E4107
	v_add_f32_e64 v4, v4, 1.0                                  // 000000006D8C: D1010004 0001E504
	v_add_f32_e64 v5, v5, 1.0                                  // 000000006D94: D1010005 0001E505
	v_add_f32_e64 v6, v6, 1.0                                  // 000000006D9C: D1010006 0001E506
	v_add_f32_e64 v7, v7, 1.0                                  // 000000006DA4: D1010007 0001E507
	v_rcp_f32_e32 v4, v4                                       // 000000006DAC: 7E084504
	v_rcp_f32_e32 v5, v5                                       // 000000006DB0: 7E0A4505
	v_rcp_f32_e32 v6, v6                                       // 000000006DB4: 7E0C4506
	v_rcp_f32_e32 v7, v7                                       // 000000006DB8: 7E0E4507
	v_mul_f32_e32 v96, v96, v4                                 // 000000006DBC: 0AC00960
	v_mul_f32_e32 v97, v97, v5                                 // 000000006DC0: 0AC20B61
	v_mul_f32_e32 v98, v98, v6                                 // 000000006DC4: 0AC40D62
	v_mul_f32_e32 v99, v99, v7                                 // 000000006DC8: 0AC60F63
	v_mul_f32_e32 v96, v96, v160                               // 000000006DCC: 0AC14160
	v_mul_f32_e32 v97, v97, v161                               // 000000006DD0: 0AC34361
	v_mul_f32_e32 v98, v98, v162                               // 000000006DD4: 0AC54562
	v_mul_f32_e32 v99, v99, v163                               // 000000006DD8: 0AC74763
	v_mul_f32_e64 v4, -v100, s6                                // 000000006DDC: D1050004 20000D64
	v_mul_f32_e64 v5, -v101, s6                                // 000000006DE4: D1050005 20000D65
	v_mul_f32_e64 v6, -v102, s6                                // 000000006DEC: D1050006 20000D66
	v_mul_f32_e64 v7, -v103, s6                                // 000000006DF4: D1050007 20000D67
	v_exp_f32_e32 v4, v4                                       // 000000006DFC: 7E084104
	v_exp_f32_e32 v5, v5                                       // 000000006E00: 7E0A4105
	v_exp_f32_e32 v6, v6                                       // 000000006E04: 7E0C4106
	v_exp_f32_e32 v7, v7                                       // 000000006E08: 7E0E4107
	v_add_f32_e64 v4, v4, 1.0                                  // 000000006E0C: D1010004 0001E504
	v_add_f32_e64 v5, v5, 1.0                                  // 000000006E14: D1010005 0001E505
	v_add_f32_e64 v6, v6, 1.0                                  // 000000006E1C: D1010006 0001E506
	v_add_f32_e64 v7, v7, 1.0                                  // 000000006E24: D1010007 0001E507
	v_rcp_f32_e32 v4, v4                                       // 000000006E2C: 7E084504
	v_rcp_f32_e32 v5, v5                                       // 000000006E30: 7E0A4505
	v_rcp_f32_e32 v6, v6                                       // 000000006E34: 7E0C4506
	v_rcp_f32_e32 v7, v7                                       // 000000006E38: 7E0E4507
	v_mul_f32_e32 v100, v100, v4                               // 000000006E3C: 0AC80964
	v_mul_f32_e32 v101, v101, v5                               // 000000006E40: 0ACA0B65
	v_mul_f32_e32 v102, v102, v6                               // 000000006E44: 0ACC0D66
	v_mul_f32_e32 v103, v103, v7                               // 000000006E48: 0ACE0F67
	v_mul_f32_e32 v100, v100, v164                             // 000000006E4C: 0AC94964
	v_mul_f32_e32 v101, v101, v165                             // 000000006E50: 0ACB4B65
	v_mul_f32_e32 v102, v102, v166                             // 000000006E54: 0ACD4D66
	v_mul_f32_e32 v103, v103, v167                             // 000000006E58: 0ACF4F67
	v_mul_f32_e64 v4, -v104, s6                                // 000000006E5C: D1050004 20000D68
	v_mul_f32_e64 v5, -v105, s6                                // 000000006E64: D1050005 20000D69
	v_mul_f32_e64 v6, -v106, s6                                // 000000006E6C: D1050006 20000D6A
	v_mul_f32_e64 v7, -v107, s6                                // 000000006E74: D1050007 20000D6B
	v_exp_f32_e32 v4, v4                                       // 000000006E7C: 7E084104
	v_exp_f32_e32 v5, v5                                       // 000000006E80: 7E0A4105
	v_exp_f32_e32 v6, v6                                       // 000000006E84: 7E0C4106
	v_exp_f32_e32 v7, v7                                       // 000000006E88: 7E0E4107
	v_add_f32_e64 v4, v4, 1.0                                  // 000000006E8C: D1010004 0001E504
	v_add_f32_e64 v5, v5, 1.0                                  // 000000006E94: D1010005 0001E505
	v_add_f32_e64 v6, v6, 1.0                                  // 000000006E9C: D1010006 0001E506
	v_add_f32_e64 v7, v7, 1.0                                  // 000000006EA4: D1010007 0001E507
	v_rcp_f32_e32 v4, v4                                       // 000000006EAC: 7E084504
	v_rcp_f32_e32 v5, v5                                       // 000000006EB0: 7E0A4505
	v_rcp_f32_e32 v6, v6                                       // 000000006EB4: 7E0C4506
	v_rcp_f32_e32 v7, v7                                       // 000000006EB8: 7E0E4507
	v_mul_f32_e32 v104, v104, v4                               // 000000006EBC: 0AD00968
	v_mul_f32_e32 v105, v105, v5                               // 000000006EC0: 0AD20B69
	v_mul_f32_e32 v106, v106, v6                               // 000000006EC4: 0AD40D6A
	v_mul_f32_e32 v107, v107, v7                               // 000000006EC8: 0AD60F6B
	v_mul_f32_e32 v104, v104, v168                             // 000000006ECC: 0AD15168
	v_mul_f32_e32 v105, v105, v169                             // 000000006ED0: 0AD35369
	v_mul_f32_e32 v106, v106, v170                             // 000000006ED4: 0AD5556A
	v_mul_f32_e32 v107, v107, v171                             // 000000006ED8: 0AD7576B
	v_mul_f32_e64 v4, -v108, s6                                // 000000006EDC: D1050004 20000D6C
	v_mul_f32_e64 v5, -v109, s6                                // 000000006EE4: D1050005 20000D6D
	v_mul_f32_e64 v6, -v110, s6                                // 000000006EEC: D1050006 20000D6E
	v_mul_f32_e64 v7, -v111, s6                                // 000000006EF4: D1050007 20000D6F
	v_exp_f32_e32 v4, v4                                       // 000000006EFC: 7E084104
	v_exp_f32_e32 v5, v5                                       // 000000006F00: 7E0A4105
	v_exp_f32_e32 v6, v6                                       // 000000006F04: 7E0C4106
	v_exp_f32_e32 v7, v7                                       // 000000006F08: 7E0E4107
	v_add_f32_e64 v4, v4, 1.0                                  // 000000006F0C: D1010004 0001E504
	v_add_f32_e64 v5, v5, 1.0                                  // 000000006F14: D1010005 0001E505
	v_add_f32_e64 v6, v6, 1.0                                  // 000000006F1C: D1010006 0001E506
	v_add_f32_e64 v7, v7, 1.0                                  // 000000006F24: D1010007 0001E507
	v_rcp_f32_e32 v4, v4                                       // 000000006F2C: 7E084504
	v_rcp_f32_e32 v5, v5                                       // 000000006F30: 7E0A4505
	v_rcp_f32_e32 v6, v6                                       // 000000006F34: 7E0C4506
	v_rcp_f32_e32 v7, v7                                       // 000000006F38: 7E0E4507
	v_mul_f32_e32 v108, v108, v4                               // 000000006F3C: 0AD8096C
	v_mul_f32_e32 v109, v109, v5                               // 000000006F40: 0ADA0B6D
	v_mul_f32_e32 v110, v110, v6                               // 000000006F44: 0ADC0D6E
	v_mul_f32_e32 v111, v111, v7                               // 000000006F48: 0ADE0F6F
	v_mul_f32_e32 v108, v108, v172                             // 000000006F4C: 0AD9596C
	v_mul_f32_e32 v109, v109, v173                             // 000000006F50: 0ADB5B6D
	v_mul_f32_e32 v110, v110, v174                             // 000000006F54: 0ADD5D6E
	v_mul_f32_e32 v111, v111, v175                             // 000000006F58: 0ADF5F6F
	v_mul_f32_e64 v4, -v112, s6                                // 000000006F5C: D1050004 20000D70
	v_mul_f32_e64 v5, -v113, s6                                // 000000006F64: D1050005 20000D71
	v_mul_f32_e64 v6, -v114, s6                                // 000000006F6C: D1050006 20000D72
	v_mul_f32_e64 v7, -v115, s6                                // 000000006F74: D1050007 20000D73
	v_exp_f32_e32 v4, v4                                       // 000000006F7C: 7E084104
	v_exp_f32_e32 v5, v5                                       // 000000006F80: 7E0A4105
	v_exp_f32_e32 v6, v6                                       // 000000006F84: 7E0C4106
	v_exp_f32_e32 v7, v7                                       // 000000006F88: 7E0E4107
	v_add_f32_e64 v4, v4, 1.0                                  // 000000006F8C: D1010004 0001E504
	v_add_f32_e64 v5, v5, 1.0                                  // 000000006F94: D1010005 0001E505
	v_add_f32_e64 v6, v6, 1.0                                  // 000000006F9C: D1010006 0001E506
	v_add_f32_e64 v7, v7, 1.0                                  // 000000006FA4: D1010007 0001E507
	v_rcp_f32_e32 v4, v4                                       // 000000006FAC: 7E084504
	v_rcp_f32_e32 v5, v5                                       // 000000006FB0: 7E0A4505
	v_rcp_f32_e32 v6, v6                                       // 000000006FB4: 7E0C4506
	v_rcp_f32_e32 v7, v7                                       // 000000006FB8: 7E0E4507
	v_mul_f32_e32 v112, v112, v4                               // 000000006FBC: 0AE00970
	v_mul_f32_e32 v113, v113, v5                               // 000000006FC0: 0AE20B71
	v_mul_f32_e32 v114, v114, v6                               // 000000006FC4: 0AE40D72
	v_mul_f32_e32 v115, v115, v7                               // 000000006FC8: 0AE60F73
	v_mul_f32_e32 v112, v112, v176                             // 000000006FCC: 0AE16170
	v_mul_f32_e32 v113, v113, v177                             // 000000006FD0: 0AE36371
	v_mul_f32_e32 v114, v114, v178                             // 000000006FD4: 0AE56572
	v_mul_f32_e32 v115, v115, v179                             // 000000006FD8: 0AE76773
	v_mul_f32_e64 v4, -v116, s6                                // 000000006FDC: D1050004 20000D74
	v_mul_f32_e64 v5, -v117, s6                                // 000000006FE4: D1050005 20000D75
	v_mul_f32_e64 v6, -v118, s6                                // 000000006FEC: D1050006 20000D76
	v_mul_f32_e64 v7, -v119, s6                                // 000000006FF4: D1050007 20000D77
	v_exp_f32_e32 v4, v4                                       // 000000006FFC: 7E084104
	v_exp_f32_e32 v5, v5                                       // 000000007000: 7E0A4105
	v_exp_f32_e32 v6, v6                                       // 000000007004: 7E0C4106
	v_exp_f32_e32 v7, v7                                       // 000000007008: 7E0E4107
	v_add_f32_e64 v4, v4, 1.0                                  // 00000000700C: D1010004 0001E504
	v_add_f32_e64 v5, v5, 1.0                                  // 000000007014: D1010005 0001E505
	v_add_f32_e64 v6, v6, 1.0                                  // 00000000701C: D1010006 0001E506
	v_add_f32_e64 v7, v7, 1.0                                  // 000000007024: D1010007 0001E507
	v_rcp_f32_e32 v4, v4                                       // 00000000702C: 7E084504
	v_rcp_f32_e32 v5, v5                                       // 000000007030: 7E0A4505
	v_rcp_f32_e32 v6, v6                                       // 000000007034: 7E0C4506
	v_rcp_f32_e32 v7, v7                                       // 000000007038: 7E0E4507
	v_mul_f32_e32 v116, v116, v4                               // 00000000703C: 0AE80974
	v_mul_f32_e32 v117, v117, v5                               // 000000007040: 0AEA0B75
	v_mul_f32_e32 v118, v118, v6                               // 000000007044: 0AEC0D76
	v_mul_f32_e32 v119, v119, v7                               // 000000007048: 0AEE0F77
	v_mul_f32_e32 v116, v116, v180                             // 00000000704C: 0AE96974
	v_mul_f32_e32 v117, v117, v181                             // 000000007050: 0AEB6B75
	v_mul_f32_e32 v118, v118, v182                             // 000000007054: 0AED6D76
	v_mul_f32_e32 v119, v119, v183                             // 000000007058: 0AEF6F77
	v_mul_f32_e64 v4, -v120, s6                                // 00000000705C: D1050004 20000D78
	v_mul_f32_e64 v5, -v121, s6                                // 000000007064: D1050005 20000D79
	v_mul_f32_e64 v6, -v122, s6                                // 00000000706C: D1050006 20000D7A
	v_mul_f32_e64 v7, -v123, s6                                // 000000007074: D1050007 20000D7B
	v_exp_f32_e32 v4, v4                                       // 00000000707C: 7E084104
	v_exp_f32_e32 v5, v5                                       // 000000007080: 7E0A4105
	v_exp_f32_e32 v6, v6                                       // 000000007084: 7E0C4106
	v_exp_f32_e32 v7, v7                                       // 000000007088: 7E0E4107
	v_add_f32_e64 v4, v4, 1.0                                  // 00000000708C: D1010004 0001E504
	v_add_f32_e64 v5, v5, 1.0                                  // 000000007094: D1010005 0001E505
	v_add_f32_e64 v6, v6, 1.0                                  // 00000000709C: D1010006 0001E506
	v_add_f32_e64 v7, v7, 1.0                                  // 0000000070A4: D1010007 0001E507
	v_rcp_f32_e32 v4, v4                                       // 0000000070AC: 7E084504
	v_rcp_f32_e32 v5, v5                                       // 0000000070B0: 7E0A4505
	v_rcp_f32_e32 v6, v6                                       // 0000000070B4: 7E0C4506
	v_rcp_f32_e32 v7, v7                                       // 0000000070B8: 7E0E4507
	v_mul_f32_e32 v120, v120, v4                               // 0000000070BC: 0AF00978
	v_mul_f32_e32 v121, v121, v5                               // 0000000070C0: 0AF20B79
	v_mul_f32_e32 v122, v122, v6                               // 0000000070C4: 0AF40D7A
	v_mul_f32_e32 v123, v123, v7                               // 0000000070C8: 0AF60F7B
	v_mul_f32_e32 v120, v120, v184                             // 0000000070CC: 0AF17178
	v_mul_f32_e32 v121, v121, v185                             // 0000000070D0: 0AF37379
	v_mul_f32_e32 v122, v122, v186                             // 0000000070D4: 0AF5757A
	v_mul_f32_e32 v123, v123, v187                             // 0000000070D8: 0AF7777B

00000000000070dc <label_11B7>:
	v_cmp_u_f32_e64 s[46:47], v60, v60                         // 0000000070DC: D048002E 0002793C
	v_add3_u32 v16, v60, v19, 1                                // 0000000070E4: D1FF0010 0206273C
	v_cndmask_b32_e64 v4, v16, v18, s[46:47]                   // 0000000070EC: D1000004 00BA2510
	v_cmp_u_f32_e64 s[46:47], v61, v61                         // 0000000070F4: D048002E 00027B3D
	v_add3_u32 v16, v61, v19, 1                                // 0000000070FC: D1FF0010 0206273D
	v_cndmask_b32_e64 v5, v16, v18, s[46:47]                   // 000000007104: D1000005 00BA2510
	v_perm_b32 v60, v5, v4, s52                                // 00000000710C: D1ED003C 00D20905
	v_cmp_u_f32_e64 s[46:47], v62, v62                         // 000000007114: D048002E 00027D3E
	v_add3_u32 v16, v62, v19, 1                                // 00000000711C: D1FF0010 0206273E
	v_cndmask_b32_e64 v4, v16, v18, s[46:47]                   // 000000007124: D1000004 00BA2510
	v_cmp_u_f32_e64 s[46:47], v63, v63                         // 00000000712C: D048002E 00027F3F
	v_add3_u32 v16, v63, v19, 1                                // 000000007134: D1FF0010 0206273F
	v_cndmask_b32_e64 v5, v16, v18, s[46:47]                   // 00000000713C: D1000005 00BA2510
	v_perm_b32 v61, v5, v4, s52                                // 000000007144: D1ED003D 00D20905
	v_cmp_u_f32_e64 s[46:47], v64, v64                         // 00000000714C: D048002E 00028140
	v_add3_u32 v16, v64, v19, 1                                // 000000007154: D1FF0010 02062740
	v_cndmask_b32_e64 v4, v16, v18, s[46:47]                   // 00000000715C: D1000004 00BA2510
	v_cmp_u_f32_e64 s[46:47], v65, v65                         // 000000007164: D048002E 00028341
	v_add3_u32 v16, v65, v19, 1                                // 00000000716C: D1FF0010 02062741
	v_cndmask_b32_e64 v5, v16, v18, s[46:47]                   // 000000007174: D1000005 00BA2510
	v_perm_b32 v62, v5, v4, s52                                // 00000000717C: D1ED003E 00D20905
	v_cmp_u_f32_e64 s[46:47], v66, v66                         // 000000007184: D048002E 00028542
	v_add3_u32 v16, v66, v19, 1                                // 00000000718C: D1FF0010 02062742
	v_cndmask_b32_e64 v4, v16, v18, s[46:47]                   // 000000007194: D1000004 00BA2510
	v_cmp_u_f32_e64 s[46:47], v67, v67                         // 00000000719C: D048002E 00028743
	v_add3_u32 v16, v67, v19, 1                                // 0000000071A4: D1FF0010 02062743
	v_cndmask_b32_e64 v5, v16, v18, s[46:47]                   // 0000000071AC: D1000005 00BA2510
	v_perm_b32 v63, v5, v4, s52                                // 0000000071B4: D1ED003F 00D20905
	v_cmp_u_f32_e64 s[46:47], v68, v68                         // 0000000071BC: D048002E 00028944
	v_add3_u32 v16, v68, v19, 1                                // 0000000071C4: D1FF0010 02062744
	v_cndmask_b32_e64 v4, v16, v18, s[46:47]                   // 0000000071CC: D1000004 00BA2510
	v_cmp_u_f32_e64 s[46:47], v69, v69                         // 0000000071D4: D048002E 00028B45
	v_add3_u32 v16, v69, v19, 1                                // 0000000071DC: D1FF0010 02062745
	v_cndmask_b32_e64 v5, v16, v18, s[46:47]                   // 0000000071E4: D1000005 00BA2510
	v_perm_b32 v64, v5, v4, s52                                // 0000000071EC: D1ED0040 00D20905
	v_cmp_u_f32_e64 s[46:47], v70, v70                         // 0000000071F4: D048002E 00028D46
	v_add3_u32 v16, v70, v19, 1                                // 0000000071FC: D1FF0010 02062746
	v_cndmask_b32_e64 v4, v16, v18, s[46:47]                   // 000000007204: D1000004 00BA2510
	v_cmp_u_f32_e64 s[46:47], v71, v71                         // 00000000720C: D048002E 00028F47
	v_add3_u32 v16, v71, v19, 1                                // 000000007214: D1FF0010 02062747
	v_cndmask_b32_e64 v5, v16, v18, s[46:47]                   // 00000000721C: D1000005 00BA2510
	v_perm_b32 v65, v5, v4, s52                                // 000000007224: D1ED0041 00D20905
	v_cmp_u_f32_e64 s[46:47], v72, v72                         // 00000000722C: D048002E 00029148
	v_add3_u32 v16, v72, v19, 1                                // 000000007234: D1FF0010 02062748
	v_cndmask_b32_e64 v4, v16, v18, s[46:47]                   // 00000000723C: D1000004 00BA2510
	v_cmp_u_f32_e64 s[46:47], v73, v73                         // 000000007244: D048002E 00029349
	v_add3_u32 v16, v73, v19, 1                                // 00000000724C: D1FF0010 02062749
	v_cndmask_b32_e64 v5, v16, v18, s[46:47]                   // 000000007254: D1000005 00BA2510
	v_perm_b32 v66, v5, v4, s52                                // 00000000725C: D1ED0042 00D20905
	v_cmp_u_f32_e64 s[46:47], v74, v74                         // 000000007264: D048002E 0002954A
	v_add3_u32 v16, v74, v19, 1                                // 00000000726C: D1FF0010 0206274A
	v_cndmask_b32_e64 v4, v16, v18, s[46:47]                   // 000000007274: D1000004 00BA2510
	v_cmp_u_f32_e64 s[46:47], v75, v75                         // 00000000727C: D048002E 0002974B
	v_add3_u32 v16, v75, v19, 1                                // 000000007284: D1FF0010 0206274B
	v_cndmask_b32_e64 v5, v16, v18, s[46:47]                   // 00000000728C: D1000005 00BA2510
	v_perm_b32 v67, v5, v4, s52                                // 000000007294: D1ED0043 00D20905
	v_cmp_u_f32_e64 s[46:47], v76, v76                         // 00000000729C: D048002E 0002994C
	v_add3_u32 v16, v76, v19, 1                                // 0000000072A4: D1FF0010 0206274C
	v_cndmask_b32_e64 v4, v16, v18, s[46:47]                   // 0000000072AC: D1000004 00BA2510
	v_cmp_u_f32_e64 s[46:47], v77, v77                         // 0000000072B4: D048002E 00029B4D
	v_add3_u32 v16, v77, v19, 1                                // 0000000072BC: D1FF0010 0206274D
	v_cndmask_b32_e64 v5, v16, v18, s[46:47]                   // 0000000072C4: D1000005 00BA2510
	v_perm_b32 v68, v5, v4, s52                                // 0000000072CC: D1ED0044 00D20905
	v_cmp_u_f32_e64 s[46:47], v78, v78                         // 0000000072D4: D048002E 00029D4E
	v_add3_u32 v16, v78, v19, 1                                // 0000000072DC: D1FF0010 0206274E
	v_cndmask_b32_e64 v4, v16, v18, s[46:47]                   // 0000000072E4: D1000004 00BA2510
	v_cmp_u_f32_e64 s[46:47], v79, v79                         // 0000000072EC: D048002E 00029F4F
	v_add3_u32 v16, v79, v19, 1                                // 0000000072F4: D1FF0010 0206274F
	v_cndmask_b32_e64 v5, v16, v18, s[46:47]                   // 0000000072FC: D1000005 00BA2510
	v_perm_b32 v69, v5, v4, s52                                // 000000007304: D1ED0045 00D20905
	v_cmp_u_f32_e64 s[46:47], v80, v80                         // 00000000730C: D048002E 0002A150
	v_add3_u32 v16, v80, v19, 1                                // 000000007314: D1FF0010 02062750
	v_cndmask_b32_e64 v4, v16, v18, s[46:47]                   // 00000000731C: D1000004 00BA2510
	v_cmp_u_f32_e64 s[46:47], v81, v81                         // 000000007324: D048002E 0002A351
	v_add3_u32 v16, v81, v19, 1                                // 00000000732C: D1FF0010 02062751
	v_cndmask_b32_e64 v5, v16, v18, s[46:47]                   // 000000007334: D1000005 00BA2510
	v_perm_b32 v70, v5, v4, s52                                // 00000000733C: D1ED0046 00D20905
	v_cmp_u_f32_e64 s[46:47], v82, v82                         // 000000007344: D048002E 0002A552
	v_add3_u32 v16, v82, v19, 1                                // 00000000734C: D1FF0010 02062752
	v_cndmask_b32_e64 v4, v16, v18, s[46:47]                   // 000000007354: D1000004 00BA2510
	v_cmp_u_f32_e64 s[46:47], v83, v83                         // 00000000735C: D048002E 0002A753
	v_add3_u32 v16, v83, v19, 1                                // 000000007364: D1FF0010 02062753
	v_cndmask_b32_e64 v5, v16, v18, s[46:47]                   // 00000000736C: D1000005 00BA2510
	v_perm_b32 v71, v5, v4, s52                                // 000000007374: D1ED0047 00D20905
	v_cmp_u_f32_e64 s[46:47], v84, v84                         // 00000000737C: D048002E 0002A954
	v_add3_u32 v16, v84, v19, 1                                // 000000007384: D1FF0010 02062754
	v_cndmask_b32_e64 v4, v16, v18, s[46:47]                   // 00000000738C: D1000004 00BA2510
	v_cmp_u_f32_e64 s[46:47], v85, v85                         // 000000007394: D048002E 0002AB55
	v_add3_u32 v16, v85, v19, 1                                // 00000000739C: D1FF0010 02062755
	v_cndmask_b32_e64 v5, v16, v18, s[46:47]                   // 0000000073A4: D1000005 00BA2510
	v_perm_b32 v72, v5, v4, s52                                // 0000000073AC: D1ED0048 00D20905
	v_cmp_u_f32_e64 s[46:47], v86, v86                         // 0000000073B4: D048002E 0002AD56
	v_add3_u32 v16, v86, v19, 1                                // 0000000073BC: D1FF0010 02062756
	v_cndmask_b32_e64 v4, v16, v18, s[46:47]                   // 0000000073C4: D1000004 00BA2510
	v_cmp_u_f32_e64 s[46:47], v87, v87                         // 0000000073CC: D048002E 0002AF57
	v_add3_u32 v16, v87, v19, 1                                // 0000000073D4: D1FF0010 02062757
	v_cndmask_b32_e64 v5, v16, v18, s[46:47]                   // 0000000073DC: D1000005 00BA2510
	v_perm_b32 v73, v5, v4, s52                                // 0000000073E4: D1ED0049 00D20905
	v_cmp_u_f32_e64 s[46:47], v88, v88                         // 0000000073EC: D048002E 0002B158
	v_add3_u32 v16, v88, v19, 1                                // 0000000073F4: D1FF0010 02062758
	v_cndmask_b32_e64 v4, v16, v18, s[46:47]                   // 0000000073FC: D1000004 00BA2510
	v_cmp_u_f32_e64 s[46:47], v89, v89                         // 000000007404: D048002E 0002B359
	v_add3_u32 v16, v89, v19, 1                                // 00000000740C: D1FF0010 02062759
	v_cndmask_b32_e64 v5, v16, v18, s[46:47]                   // 000000007414: D1000005 00BA2510
	v_perm_b32 v74, v5, v4, s52                                // 00000000741C: D1ED004A 00D20905
	v_cmp_u_f32_e64 s[46:47], v90, v90                         // 000000007424: D048002E 0002B55A
	v_add3_u32 v16, v90, v19, 1                                // 00000000742C: D1FF0010 0206275A
	v_cndmask_b32_e64 v4, v16, v18, s[46:47]                   // 000000007434: D1000004 00BA2510
	v_cmp_u_f32_e64 s[46:47], v91, v91                         // 00000000743C: D048002E 0002B75B
	v_add3_u32 v16, v91, v19, 1                                // 000000007444: D1FF0010 0206275B
	v_cndmask_b32_e64 v5, v16, v18, s[46:47]                   // 00000000744C: D1000005 00BA2510
	v_perm_b32 v75, v5, v4, s52                                // 000000007454: D1ED004B 00D20905
	v_cmp_u_f32_e64 s[46:47], v92, v92                         // 00000000745C: D048002E 0002B95C
	v_add3_u32 v16, v92, v19, 1                                // 000000007464: D1FF0010 0206275C
	v_cndmask_b32_e64 v4, v16, v18, s[46:47]                   // 00000000746C: D1000004 00BA2510
	v_cmp_u_f32_e64 s[46:47], v93, v93                         // 000000007474: D048002E 0002BB5D
	v_add3_u32 v16, v93, v19, 1                                // 00000000747C: D1FF0010 0206275D
	v_cndmask_b32_e64 v5, v16, v18, s[46:47]                   // 000000007484: D1000005 00BA2510
	v_perm_b32 v76, v5, v4, s52                                // 00000000748C: D1ED004C 00D20905
	v_cmp_u_f32_e64 s[46:47], v94, v94                         // 000000007494: D048002E 0002BD5E
	v_add3_u32 v16, v94, v19, 1                                // 00000000749C: D1FF0010 0206275E
	v_cndmask_b32_e64 v4, v16, v18, s[46:47]                   // 0000000074A4: D1000004 00BA2510
	v_cmp_u_f32_e64 s[46:47], v95, v95                         // 0000000074AC: D048002E 0002BF5F
	v_add3_u32 v16, v95, v19, 1                                // 0000000074B4: D1FF0010 0206275F
	v_cndmask_b32_e64 v5, v16, v18, s[46:47]                   // 0000000074BC: D1000005 00BA2510
	v_perm_b32 v77, v5, v4, s52                                // 0000000074C4: D1ED004D 00D20905
	v_cmp_u_f32_e64 s[46:47], v96, v96                         // 0000000074CC: D048002E 0002C160
	v_add3_u32 v16, v96, v19, 1                                // 0000000074D4: D1FF0010 02062760
	v_cndmask_b32_e64 v4, v16, v18, s[46:47]                   // 0000000074DC: D1000004 00BA2510
	v_cmp_u_f32_e64 s[46:47], v97, v97                         // 0000000074E4: D048002E 0002C361
	v_add3_u32 v16, v97, v19, 1                                // 0000000074EC: D1FF0010 02062761
	v_cndmask_b32_e64 v5, v16, v18, s[46:47]                   // 0000000074F4: D1000005 00BA2510
	v_perm_b32 v78, v5, v4, s52                                // 0000000074FC: D1ED004E 00D20905
	v_cmp_u_f32_e64 s[46:47], v98, v98                         // 000000007504: D048002E 0002C562
	v_add3_u32 v16, v98, v19, 1                                // 00000000750C: D1FF0010 02062762
	v_cndmask_b32_e64 v4, v16, v18, s[46:47]                   // 000000007514: D1000004 00BA2510
	v_cmp_u_f32_e64 s[46:47], v99, v99                         // 00000000751C: D048002E 0002C763
	v_add3_u32 v16, v99, v19, 1                                // 000000007524: D1FF0010 02062763
	v_cndmask_b32_e64 v5, v16, v18, s[46:47]                   // 00000000752C: D1000005 00BA2510
	v_perm_b32 v79, v5, v4, s52                                // 000000007534: D1ED004F 00D20905
	v_cmp_u_f32_e64 s[46:47], v100, v100                       // 00000000753C: D048002E 0002C964
	v_add3_u32 v16, v100, v19, 1                               // 000000007544: D1FF0010 02062764
	v_cndmask_b32_e64 v4, v16, v18, s[46:47]                   // 00000000754C: D1000004 00BA2510
	v_cmp_u_f32_e64 s[46:47], v101, v101                       // 000000007554: D048002E 0002CB65
	v_add3_u32 v16, v101, v19, 1                               // 00000000755C: D1FF0010 02062765
	v_cndmask_b32_e64 v5, v16, v18, s[46:47]                   // 000000007564: D1000005 00BA2510
	v_perm_b32 v80, v5, v4, s52                                // 00000000756C: D1ED0050 00D20905
	v_cmp_u_f32_e64 s[46:47], v102, v102                       // 000000007574: D048002E 0002CD66
	v_add3_u32 v16, v102, v19, 1                               // 00000000757C: D1FF0010 02062766
	v_cndmask_b32_e64 v4, v16, v18, s[46:47]                   // 000000007584: D1000004 00BA2510
	v_cmp_u_f32_e64 s[46:47], v103, v103                       // 00000000758C: D048002E 0002CF67
	v_add3_u32 v16, v103, v19, 1                               // 000000007594: D1FF0010 02062767
	v_cndmask_b32_e64 v5, v16, v18, s[46:47]                   // 00000000759C: D1000005 00BA2510
	v_perm_b32 v81, v5, v4, s52                                // 0000000075A4: D1ED0051 00D20905
	v_cmp_u_f32_e64 s[46:47], v104, v104                       // 0000000075AC: D048002E 0002D168
	v_add3_u32 v16, v104, v19, 1                               // 0000000075B4: D1FF0010 02062768
	v_cndmask_b32_e64 v4, v16, v18, s[46:47]                   // 0000000075BC: D1000004 00BA2510
	v_cmp_u_f32_e64 s[46:47], v105, v105                       // 0000000075C4: D048002E 0002D369
	v_add3_u32 v16, v105, v19, 1                               // 0000000075CC: D1FF0010 02062769
	v_cndmask_b32_e64 v5, v16, v18, s[46:47]                   // 0000000075D4: D1000005 00BA2510
	v_perm_b32 v82, v5, v4, s52                                // 0000000075DC: D1ED0052 00D20905
	v_cmp_u_f32_e64 s[46:47], v106, v106                       // 0000000075E4: D048002E 0002D56A
	v_add3_u32 v16, v106, v19, 1                               // 0000000075EC: D1FF0010 0206276A
	v_cndmask_b32_e64 v4, v16, v18, s[46:47]                   // 0000000075F4: D1000004 00BA2510
	v_cmp_u_f32_e64 s[46:47], v107, v107                       // 0000000075FC: D048002E 0002D76B
	v_add3_u32 v16, v107, v19, 1                               // 000000007604: D1FF0010 0206276B
	v_cndmask_b32_e64 v5, v16, v18, s[46:47]                   // 00000000760C: D1000005 00BA2510
	v_perm_b32 v83, v5, v4, s52                                // 000000007614: D1ED0053 00D20905
	v_cmp_u_f32_e64 s[46:47], v108, v108                       // 00000000761C: D048002E 0002D96C
	v_add3_u32 v16, v108, v19, 1                               // 000000007624: D1FF0010 0206276C
	v_cndmask_b32_e64 v4, v16, v18, s[46:47]                   // 00000000762C: D1000004 00BA2510
	v_cmp_u_f32_e64 s[46:47], v109, v109                       // 000000007634: D048002E 0002DB6D
	v_add3_u32 v16, v109, v19, 1                               // 00000000763C: D1FF0010 0206276D
	v_cndmask_b32_e64 v5, v16, v18, s[46:47]                   // 000000007644: D1000005 00BA2510
	v_perm_b32 v84, v5, v4, s52                                // 00000000764C: D1ED0054 00D20905
	v_cmp_u_f32_e64 s[46:47], v110, v110                       // 000000007654: D048002E 0002DD6E
	v_add3_u32 v16, v110, v19, 1                               // 00000000765C: D1FF0010 0206276E
	v_cndmask_b32_e64 v4, v16, v18, s[46:47]                   // 000000007664: D1000004 00BA2510
	v_cmp_u_f32_e64 s[46:47], v111, v111                       // 00000000766C: D048002E 0002DF6F
	v_add3_u32 v16, v111, v19, 1                               // 000000007674: D1FF0010 0206276F
	v_cndmask_b32_e64 v5, v16, v18, s[46:47]                   // 00000000767C: D1000005 00BA2510
	v_perm_b32 v85, v5, v4, s52                                // 000000007684: D1ED0055 00D20905
	v_cmp_u_f32_e64 s[46:47], v112, v112                       // 00000000768C: D048002E 0002E170
	v_add3_u32 v16, v112, v19, 1                               // 000000007694: D1FF0010 02062770
	v_cndmask_b32_e64 v4, v16, v18, s[46:47]                   // 00000000769C: D1000004 00BA2510
	v_cmp_u_f32_e64 s[46:47], v113, v113                       // 0000000076A4: D048002E 0002E371
	v_add3_u32 v16, v113, v19, 1                               // 0000000076AC: D1FF0010 02062771
	v_cndmask_b32_e64 v5, v16, v18, s[46:47]                   // 0000000076B4: D1000005 00BA2510
	v_perm_b32 v86, v5, v4, s52                                // 0000000076BC: D1ED0056 00D20905
	v_cmp_u_f32_e64 s[46:47], v114, v114                       // 0000000076C4: D048002E 0002E572
	v_add3_u32 v16, v114, v19, 1                               // 0000000076CC: D1FF0010 02062772
	v_cndmask_b32_e64 v4, v16, v18, s[46:47]                   // 0000000076D4: D1000004 00BA2510
	v_cmp_u_f32_e64 s[46:47], v115, v115                       // 0000000076DC: D048002E 0002E773
	v_add3_u32 v16, v115, v19, 1                               // 0000000076E4: D1FF0010 02062773
	v_cndmask_b32_e64 v5, v16, v18, s[46:47]                   // 0000000076EC: D1000005 00BA2510
	v_perm_b32 v87, v5, v4, s52                                // 0000000076F4: D1ED0057 00D20905
	v_cmp_u_f32_e64 s[46:47], v116, v116                       // 0000000076FC: D048002E 0002E974
	v_add3_u32 v16, v116, v19, 1                               // 000000007704: D1FF0010 02062774
	v_cndmask_b32_e64 v4, v16, v18, s[46:47]                   // 00000000770C: D1000004 00BA2510
	v_cmp_u_f32_e64 s[46:47], v117, v117                       // 000000007714: D048002E 0002EB75
	v_add3_u32 v16, v117, v19, 1                               // 00000000771C: D1FF0010 02062775
	v_cndmask_b32_e64 v5, v16, v18, s[46:47]                   // 000000007724: D1000005 00BA2510
	v_perm_b32 v88, v5, v4, s52                                // 00000000772C: D1ED0058 00D20905
	v_cmp_u_f32_e64 s[46:47], v118, v118                       // 000000007734: D048002E 0002ED76
	v_add3_u32 v16, v118, v19, 1                               // 00000000773C: D1FF0010 02062776
	v_cndmask_b32_e64 v4, v16, v18, s[46:47]                   // 000000007744: D1000004 00BA2510
	v_cmp_u_f32_e64 s[46:47], v119, v119                       // 00000000774C: D048002E 0002EF77
	v_add3_u32 v16, v119, v19, 1                               // 000000007754: D1FF0010 02062777
	v_cndmask_b32_e64 v5, v16, v18, s[46:47]                   // 00000000775C: D1000005 00BA2510
	v_perm_b32 v89, v5, v4, s52                                // 000000007764: D1ED0059 00D20905
	v_cmp_u_f32_e64 s[46:47], v120, v120                       // 00000000776C: D048002E 0002F178
	v_add3_u32 v16, v120, v19, 1                               // 000000007774: D1FF0010 02062778
	v_cndmask_b32_e64 v4, v16, v18, s[46:47]                   // 00000000777C: D1000004 00BA2510
	v_cmp_u_f32_e64 s[46:47], v121, v121                       // 000000007784: D048002E 0002F379
	v_add3_u32 v16, v121, v19, 1                               // 00000000778C: D1FF0010 02062779
	v_cndmask_b32_e64 v5, v16, v18, s[46:47]                   // 000000007794: D1000005 00BA2510
	v_perm_b32 v90, v5, v4, s52                                // 00000000779C: D1ED005A 00D20905
	v_cmp_u_f32_e64 s[46:47], v122, v122                       // 0000000077A4: D048002E 0002F57A
	v_add3_u32 v16, v122, v19, 1                               // 0000000077AC: D1FF0010 0206277A
	v_cndmask_b32_e64 v4, v16, v18, s[46:47]                   // 0000000077B4: D1000004 00BA2510
	v_cmp_u_f32_e64 s[46:47], v123, v123                       // 0000000077BC: D048002E 0002F77B
	v_add3_u32 v16, v123, v19, 1                               // 0000000077C4: D1FF0010 0206277B
	v_cndmask_b32_e64 v5, v16, v18, s[46:47]                   // 0000000077CC: D1000005 00BA2510
	v_perm_b32 v91, v5, v4, s52                                // 0000000077D4: D1ED005B 00D20905
	ds_write_b64 v20, v[60:61]                                 // 0000000077DC: D89A0000 00003C14
	ds_write_b64 v20, v[62:63] offset:8704                     // 0000000077E4: D89A2200 00003E14
	ds_write_b64 v20, v[64:65] offset:17408                    // 0000000077EC: D89A4400 00004014
	ds_write_b64 v20, v[66:67] offset:26112                    // 0000000077F4: D89A6600 00004214
	ds_write_b64 v20, v[68:69] offset:2176                     // 0000000077FC: D89A0880 00004414
	ds_write_b64 v20, v[70:71] offset:10880                    // 000000007804: D89A2A80 00004614
	ds_write_b64 v20, v[72:73] offset:19584                    // 00000000780C: D89A4C80 00004814
	ds_write_b64 v20, v[74:75] offset:28288                    // 000000007814: D89A6E80 00004A14
	ds_write_b64 v20, v[76:77] offset:4352                     // 00000000781C: D89A1100 00004C14
	ds_write_b64 v20, v[78:79] offset:13056                    // 000000007824: D89A3300 00004E14
	ds_write_b64 v20, v[80:81] offset:21760                    // 00000000782C: D89A5500 00005014
	ds_write_b64 v20, v[82:83] offset:30464                    // 000000007834: D89A7700 00005214
	ds_write_b64 v20, v[84:85] offset:6528                     // 00000000783C: D89A1980 00005414
	ds_write_b64 v20, v[86:87] offset:15232                    // 000000007844: D89A3B80 00005614
	ds_write_b64 v20, v[88:89] offset:23936                    // 00000000784C: D89A5D80 00005814
	ds_write_b64 v20, v[90:91] offset:32640                    // 000000007854: D89A7F80 00005A14
	v_lshrrev_b32_e32 v4, 5, v0                                // 00000000785C: 20080085
	v_xor_b32_e32 v5, 1, v4                                    // 000000007860: 2A0A0881
	s_mul_i32 s60, s65, 2                                      // 000000007864: 923C8241
	s_cmp_eq_u32 s88, 0                                        // 000000007868: BF068058
	s_cselect_b32 s61, 1, 4                                    // 00000000786C: 853D8481
	s_mul_i32 s60, s61, s60                                    // 000000007870: 923C3C3D
	v_readlane_b32 s82, v3, 0                                  // 000000007874: D2890052 00010103
	s_lshr_b32 s61, s82, 24                                    // 00000000787C: 8F3D9852
	s_and_b32 s82, s82, 0xffffff                               // 000000007880: 8652FF52 00FFFFFF
	s_mul_i32 s82, s82, s71                                    // 000000007888: 92524752
	s_mul_i32 s61, s60, s61                                    // 00000000788C: 923D3D3C
	s_add_u32 s82, s82, s61                                    // 000000007890: 80523D52
	v_mul_lo_u32 v6, v5, s82                                   // 000000007894: D2850006 0000A505
	v_readlane_b32 s82, v3, 1                                  // 00000000789C: D2890052 00010303
	s_lshr_b32 s61, s82, 24                                    // 0000000078A4: 8F3D9852
	s_and_b32 s82, s82, 0xffffff                               // 0000000078A8: 8652FF52 00FFFFFF
	s_mul_i32 s82, s82, s71                                    // 0000000078B0: 92524752
	s_mul_i32 s61, s60, s61                                    // 0000000078B4: 923D3D3C
	s_add_u32 s82, s82, s61                                    // 0000000078B8: 80523D52
	v_mul_lo_u32 v7, v4, s82                                   // 0000000078BC: D2850007 0000A504
	v_add_u32_e32 v46, v6, v7                                  // 0000000078C4: 685C0F06
	v_readlane_b32 s82, v3, 2                                  // 0000000078C8: D2890052 00010503
	s_lshr_b32 s61, s82, 24                                    // 0000000078D0: 8F3D9852
	s_and_b32 s82, s82, 0xffffff                               // 0000000078D4: 8652FF52 00FFFFFF
	s_mul_i32 s82, s82, s71                                    // 0000000078DC: 92524752
	s_mul_i32 s61, s60, s61                                    // 0000000078E0: 923D3D3C
	s_add_u32 s82, s82, s61                                    // 0000000078E4: 80523D52
	v_mul_lo_u32 v6, v5, s82                                   // 0000000078E8: D2850006 0000A505
	v_readlane_b32 s82, v3, 3                                  // 0000000078F0: D2890052 00010703
	s_lshr_b32 s61, s82, 24                                    // 0000000078F8: 8F3D9852
	s_and_b32 s82, s82, 0xffffff                               // 0000000078FC: 8652FF52 00FFFFFF
	s_mul_i32 s82, s82, s71                                    // 000000007904: 92524752
	s_mul_i32 s61, s60, s61                                    // 000000007908: 923D3D3C
	s_add_u32 s82, s82, s61                                    // 00000000790C: 80523D52
	v_mul_lo_u32 v7, v4, s82                                   // 000000007910: D2850007 0000A504
	v_add_u32_e32 v47, v6, v7                                  // 000000007918: 685E0F06
	v_readlane_b32 s82, v3, 4                                  // 00000000791C: D2890052 00010903
	s_lshr_b32 s61, s82, 24                                    // 000000007924: 8F3D9852
	s_and_b32 s82, s82, 0xffffff                               // 000000007928: 8652FF52 00FFFFFF
	s_mul_i32 s82, s82, s71                                    // 000000007930: 92524752
	s_mul_i32 s61, s60, s61                                    // 000000007934: 923D3D3C
	s_add_u32 s82, s82, s61                                    // 000000007938: 80523D52
	v_mul_lo_u32 v6, v5, s82                                   // 00000000793C: D2850006 0000A505
	v_readlane_b32 s82, v3, 5                                  // 000000007944: D2890052 00010B03
	s_lshr_b32 s61, s82, 24                                    // 00000000794C: 8F3D9852
	s_and_b32 s82, s82, 0xffffff                               // 000000007950: 8652FF52 00FFFFFF
	s_mul_i32 s82, s82, s71                                    // 000000007958: 92524752
	s_mul_i32 s61, s60, s61                                    // 00000000795C: 923D3D3C
	s_add_u32 s82, s82, s61                                    // 000000007960: 80523D52
	v_mul_lo_u32 v7, v4, s82                                   // 000000007964: D2850007 0000A504
	v_add_u32_e32 v48, v6, v7                                  // 00000000796C: 68600F06
	v_readlane_b32 s82, v3, 6                                  // 000000007970: D2890052 00010D03
	s_lshr_b32 s61, s82, 24                                    // 000000007978: 8F3D9852
	s_and_b32 s82, s82, 0xffffff                               // 00000000797C: 8652FF52 00FFFFFF
	s_mul_i32 s82, s82, s71                                    // 000000007984: 92524752
	s_mul_i32 s61, s60, s61                                    // 000000007988: 923D3D3C
	s_add_u32 s82, s82, s61                                    // 00000000798C: 80523D52
	v_mul_lo_u32 v6, v5, s82                                   // 000000007990: D2850006 0000A505
	v_readlane_b32 s82, v3, 7                                  // 000000007998: D2890052 00010F03
	s_lshr_b32 s61, s82, 24                                    // 0000000079A0: 8F3D9852
	s_and_b32 s82, s82, 0xffffff                               // 0000000079A4: 8652FF52 00FFFFFF
	s_mul_i32 s82, s82, s71                                    // 0000000079AC: 92524752
	s_mul_i32 s61, s60, s61                                    // 0000000079B0: 923D3D3C
	s_add_u32 s82, s82, s61                                    // 0000000079B4: 80523D52
	v_mul_lo_u32 v7, v4, s82                                   // 0000000079B8: D2850007 0000A504
	v_add_u32_e32 v49, v6, v7                                  // 0000000079C0: 68620F06
	v_readlane_b32 s82, v3, 8                                  // 0000000079C4: D2890052 00011103
	s_lshr_b32 s61, s82, 24                                    // 0000000079CC: 8F3D9852
	s_and_b32 s82, s82, 0xffffff                               // 0000000079D0: 8652FF52 00FFFFFF
	s_mul_i32 s82, s82, s71                                    // 0000000079D8: 92524752
	s_mul_i32 s61, s60, s61                                    // 0000000079DC: 923D3D3C
	s_add_u32 s82, s82, s61                                    // 0000000079E0: 80523D52
	v_mul_lo_u32 v6, v5, s82                                   // 0000000079E4: D2850006 0000A505
	v_readlane_b32 s82, v3, 9                                  // 0000000079EC: D2890052 00011303
	s_lshr_b32 s61, s82, 24                                    // 0000000079F4: 8F3D9852
	s_and_b32 s82, s82, 0xffffff                               // 0000000079F8: 8652FF52 00FFFFFF
	s_mul_i32 s82, s82, s71                                    // 000000007A00: 92524752
	s_mul_i32 s61, s60, s61                                    // 000000007A04: 923D3D3C
	s_add_u32 s82, s82, s61                                    // 000000007A08: 80523D52
	v_mul_lo_u32 v7, v4, s82                                   // 000000007A0C: D2850007 0000A504
	v_add_u32_e32 v50, v6, v7                                  // 000000007A14: 68640F06
	v_readlane_b32 s82, v3, 10                                 // 000000007A18: D2890052 00011503
	s_lshr_b32 s61, s82, 24                                    // 000000007A20: 8F3D9852
	s_and_b32 s82, s82, 0xffffff                               // 000000007A24: 8652FF52 00FFFFFF
	s_mul_i32 s82, s82, s71                                    // 000000007A2C: 92524752
	s_mul_i32 s61, s60, s61                                    // 000000007A30: 923D3D3C
	s_add_u32 s82, s82, s61                                    // 000000007A34: 80523D52
	v_mul_lo_u32 v6, v5, s82                                   // 000000007A38: D2850006 0000A505
	v_readlane_b32 s82, v3, 11                                 // 000000007A40: D2890052 00011703
	s_lshr_b32 s61, s82, 24                                    // 000000007A48: 8F3D9852
	s_and_b32 s82, s82, 0xffffff                               // 000000007A4C: 8652FF52 00FFFFFF
	s_mul_i32 s82, s82, s71                                    // 000000007A54: 92524752
	s_mul_i32 s61, s60, s61                                    // 000000007A58: 923D3D3C
	s_add_u32 s82, s82, s61                                    // 000000007A5C: 80523D52
	v_mul_lo_u32 v7, v4, s82                                   // 000000007A60: D2850007 0000A504
	v_add_u32_e32 v51, v6, v7                                  // 000000007A68: 68660F06
	v_readlane_b32 s82, v3, 12                                 // 000000007A6C: D2890052 00011903
	s_lshr_b32 s61, s82, 24                                    // 000000007A74: 8F3D9852
	s_and_b32 s82, s82, 0xffffff                               // 000000007A78: 8652FF52 00FFFFFF
	s_mul_i32 s82, s82, s71                                    // 000000007A80: 92524752
	s_mul_i32 s61, s60, s61                                    // 000000007A84: 923D3D3C
	s_add_u32 s82, s82, s61                                    // 000000007A88: 80523D52
	v_mul_lo_u32 v6, v5, s82                                   // 000000007A8C: D2850006 0000A505
	v_readlane_b32 s82, v3, 13                                 // 000000007A94: D2890052 00011B03
	s_lshr_b32 s61, s82, 24                                    // 000000007A9C: 8F3D9852
	s_and_b32 s82, s82, 0xffffff                               // 000000007AA0: 8652FF52 00FFFFFF
	s_mul_i32 s82, s82, s71                                    // 000000007AA8: 92524752
	s_mul_i32 s61, s60, s61                                    // 000000007AAC: 923D3D3C
	s_add_u32 s82, s82, s61                                    // 000000007AB0: 80523D52
	v_mul_lo_u32 v7, v4, s82                                   // 000000007AB4: D2850007 0000A504
	v_add_u32_e32 v52, v6, v7                                  // 000000007ABC: 68680F06
	v_readlane_b32 s82, v3, 14                                 // 000000007AC0: D2890052 00011D03
	s_lshr_b32 s61, s82, 24                                    // 000000007AC8: 8F3D9852
	s_and_b32 s82, s82, 0xffffff                               // 000000007ACC: 8652FF52 00FFFFFF
	s_mul_i32 s82, s82, s71                                    // 000000007AD4: 92524752
	s_mul_i32 s61, s60, s61                                    // 000000007AD8: 923D3D3C
	s_add_u32 s82, s82, s61                                    // 000000007ADC: 80523D52
	v_mul_lo_u32 v6, v5, s82                                   // 000000007AE0: D2850006 0000A505
	v_readlane_b32 s82, v3, 15                                 // 000000007AE8: D2890052 00011F03
	s_lshr_b32 s61, s82, 24                                    // 000000007AF0: 8F3D9852
	s_and_b32 s82, s82, 0xffffff                               // 000000007AF4: 8652FF52 00FFFFFF
	s_mul_i32 s82, s82, s71                                    // 000000007AFC: 92524752
	s_mul_i32 s61, s60, s61                                    // 000000007B00: 923D3D3C
	s_add_u32 s82, s82, s61                                    // 000000007B04: 80523D52
	v_mul_lo_u32 v7, v4, s82                                   // 000000007B08: D2850007 0000A504
	v_add_u32_e32 v53, v6, v7                                  // 000000007B10: 686A0F06
	v_and_b32_e32 v4, 31, v0                                   // 000000007B14: 2608009F
	v_lshrrev_b32_e32 v4, 1, v4                                // 000000007B18: 20080881
	s_cmp_eq_u32 s88, 0                                        // 000000007B1C: BF068058
	s_cselect_b32 s61, 2, 4                                    // 000000007B20: 853D8482
	v_mul_lo_u32 v4, v4, s61                                   // 000000007B24: D2850004 00007B04
	v_and_b32_e64 v5, v0, 1                                    // 000000007B2C: D1130005 00010300
	v_add_u32_e32 v4, v4, v5                                   // 000000007B34: 68080B04
	v_lshlrev_b32_e32 v4, 2, v4                                // 000000007B38: 24080882
	v_add_u32_e32 v46, v46, v4                                 // 000000007B3C: 685C092E
	v_add_u32_e32 v47, v47, v4                                 // 000000007B40: 685E092F
	v_add_u32_e32 v48, v48, v4                                 // 000000007B44: 68600930
	v_add_u32_e32 v49, v49, v4                                 // 000000007B48: 68620931
	v_add_u32_e32 v50, v50, v4                                 // 000000007B4C: 68640932
	v_add_u32_e32 v51, v51, v4                                 // 000000007B50: 68660933
	v_add_u32_e32 v52, v52, v4                                 // 000000007B54: 68680934
	v_add_u32_e32 v53, v53, v4                                 // 000000007B58: 686A0935
	s_waitcnt lgkmcnt(0)                                       // 000000007B5C: BF8CC07F
	s_barrier                                                  // 000000007B60: BF8A0000
	ds_read_b32 v60, v21                                       // 000000007B64: D86C0000 3C000015
	ds_read_b32 v61, v21 offset:64                             // 000000007B6C: D86C0040 3D000015
	ds_read_b32 v62, v21 offset:2176                           // 000000007B74: D86C0880 3E000015
	ds_read_b32 v63, v21 offset:2240                           // 000000007B7C: D86C08C0 3F000015
	ds_read_b32 v64, v21 offset:4352                           // 000000007B84: D86C1100 40000015
	ds_read_b32 v65, v21 offset:4416                           // 000000007B8C: D86C1140 41000015
	ds_read_b32 v66, v21 offset:6528                           // 000000007B94: D86C1980 42000015
	ds_read_b32 v67, v21 offset:6592                           // 000000007B9C: D86C19C0 43000015
	ds_read_b32 v68, v21 offset:8704                           // 000000007BA4: D86C2200 44000015
	ds_read_b32 v69, v21 offset:8768                           // 000000007BAC: D86C2240 45000015
	ds_read_b32 v70, v21 offset:10880                          // 000000007BB4: D86C2A80 46000015
	ds_read_b32 v71, v21 offset:10944                          // 000000007BBC: D86C2AC0 47000015
	ds_read_b32 v72, v21 offset:13056                          // 000000007BC4: D86C3300 48000015
	ds_read_b32 v73, v21 offset:13120                          // 000000007BCC: D86C3340 49000015
	ds_read_b32 v74, v21 offset:15232                          // 000000007BD4: D86C3B80 4A000015
	ds_read_b32 v75, v21 offset:15296                          // 000000007BDC: D86C3BC0 4B000015
	ds_read_b32 v76, v21 offset:17408                          // 000000007BE4: D86C4400 4C000015
	ds_read_b32 v77, v21 offset:17472                          // 000000007BEC: D86C4440 4D000015
	ds_read_b32 v78, v21 offset:19584                          // 000000007BF4: D86C4C80 4E000015
	ds_read_b32 v79, v21 offset:19648                          // 000000007BFC: D86C4CC0 4F000015
	ds_read_b32 v80, v21 offset:21760                          // 000000007C04: D86C5500 50000015
	ds_read_b32 v81, v21 offset:21824                          // 000000007C0C: D86C5540 51000015
	ds_read_b32 v82, v21 offset:23936                          // 000000007C14: D86C5D80 52000015
	ds_read_b32 v83, v21 offset:24000                          // 000000007C1C: D86C5DC0 53000015
	ds_read_b32 v84, v21 offset:26112                          // 000000007C24: D86C6600 54000015
	ds_read_b32 v85, v21 offset:26176                          // 000000007C2C: D86C6640 55000015
	ds_read_b32 v86, v21 offset:28288                          // 000000007C34: D86C6E80 56000015
	ds_read_b32 v87, v21 offset:28352                          // 000000007C3C: D86C6EC0 57000015
	ds_read_b32 v88, v21 offset:30464                          // 000000007C44: D86C7700 58000015
	ds_read_b32 v89, v21 offset:30528                          // 000000007C4C: D86C7740 59000015
	ds_read_b32 v90, v21 offset:32640                          // 000000007C54: D86C7F80 5A000015
	ds_read_b32 v91, v21 offset:32704                          // 000000007C5C: D86C7FC0 5B000015
	s_waitcnt lgkmcnt(0)                                       // 000000007C64: BF8CC07F
	s_mov_b32 s36, -1                                          // 000000007C68: BEA400C1
	s_mov_b32 s37, -1                                          // 000000007C6C: BEA500C1
	v_mov_b32_e32 v7, 0                                        // 000000007C70: 7E0E0280
	s_or_b32 s9, s9, 0x40000                                   // 000000007C74: 8709FF09 00040000
	s_mov_b64 exec, s[36:37]                                   // 000000007C7C: BEFE0124
	v_mov_b32_e32 v6, v46                                      // 000000007C80: 7E0C032E
	s_mov_b64 s[60:61], 0                                      // 000000007C84: BEBC0180
	v_readlane_b32 s82, v3, 0                                  // 000000007C88: D2890052 00010103
	s_and_b32 s82, s82, 0xffffff                               // 000000007C90: 8652FF52 00FFFFFF
	s_cmp_lt_u32 s82, s66                                      // 000000007C98: BF0A4252
	s_cselect_b32 s20, s36, s60                                // 000000007C9C: 85143C24
	v_readlane_b32 s82, v3, 1                                  // 000000007CA0: D2890052 00010303
	s_and_b32 s82, s82, 0xffffff                               // 000000007CA8: 8652FF52 00FFFFFF
	s_cmp_lt_u32 s82, s66                                      // 000000007CB0: BF0A4252
	s_cselect_b32 s21, s36, s60                                // 000000007CB4: 85153C24
	s_mov_b64 exec, s[20:21]                                   // 000000007CB8: BEFE0114
	buffer_store_dword v60, v6, s[8:11], 0 offen               // 000000007CBC: E0701000 80023C06
	buffer_store_dword v62, v6, s[8:11], 0 offen offset:128    // 000000007CC4: E0701080 80023E06
	buffer_store_dword v64, v6, s[8:11], 0 offen offset:256    // 000000007CCC: E0701100 80024006
	buffer_store_dword v66, v6, s[8:11], 0 offen offset:384    // 000000007CD4: E0701180 80024206
	s_mov_b64 exec, s[36:37]                                   // 000000007CDC: BEFE0124
	v_mov_b32_e32 v6, v47                                      // 000000007CE0: 7E0C032F
	s_mov_b64 s[60:61], 0                                      // 000000007CE4: BEBC0180
	v_readlane_b32 s82, v3, 2                                  // 000000007CE8: D2890052 00010503
	s_and_b32 s82, s82, 0xffffff                               // 000000007CF0: 8652FF52 00FFFFFF
	s_cmp_lt_u32 s82, s66                                      // 000000007CF8: BF0A4252
	s_cselect_b32 s20, s36, s60                                // 000000007CFC: 85143C24
	v_readlane_b32 s82, v3, 3                                  // 000000007D00: D2890052 00010703
	s_and_b32 s82, s82, 0xffffff                               // 000000007D08: 8652FF52 00FFFFFF
	s_cmp_lt_u32 s82, s66                                      // 000000007D10: BF0A4252
	s_cselect_b32 s21, s36, s60                                // 000000007D14: 85153C24
	s_mov_b64 exec, s[20:21]                                   // 000000007D18: BEFE0114
	buffer_store_dword v61, v6, s[8:11], 0 offen               // 000000007D1C: E0701000 80023D06
	buffer_store_dword v63, v6, s[8:11], 0 offen offset:128    // 000000007D24: E0701080 80023F06
	buffer_store_dword v65, v6, s[8:11], 0 offen offset:256    // 000000007D2C: E0701100 80024106
	buffer_store_dword v67, v6, s[8:11], 0 offen offset:384    // 000000007D34: E0701180 80024306
	s_mov_b64 exec, s[36:37]                                   // 000000007D3C: BEFE0124
	v_mov_b32_e32 v6, v48                                      // 000000007D40: 7E0C0330
	s_mov_b64 s[60:61], 0                                      // 000000007D44: BEBC0180
	v_readlane_b32 s82, v3, 4                                  // 000000007D48: D2890052 00010903
	s_and_b32 s82, s82, 0xffffff                               // 000000007D50: 8652FF52 00FFFFFF
	s_cmp_lt_u32 s82, s66                                      // 000000007D58: BF0A4252
	s_cselect_b32 s20, s36, s60                                // 000000007D5C: 85143C24
	v_readlane_b32 s82, v3, 5                                  // 000000007D60: D2890052 00010B03
	s_and_b32 s82, s82, 0xffffff                               // 000000007D68: 8652FF52 00FFFFFF
	s_cmp_lt_u32 s82, s66                                      // 000000007D70: BF0A4252
	s_cselect_b32 s21, s36, s60                                // 000000007D74: 85153C24
	s_mov_b64 exec, s[20:21]                                   // 000000007D78: BEFE0114
	buffer_store_dword v68, v6, s[8:11], 0 offen               // 000000007D7C: E0701000 80024406
	buffer_store_dword v70, v6, s[8:11], 0 offen offset:128    // 000000007D84: E0701080 80024606
	buffer_store_dword v72, v6, s[8:11], 0 offen offset:256    // 000000007D8C: E0701100 80024806
	buffer_store_dword v74, v6, s[8:11], 0 offen offset:384    // 000000007D94: E0701180 80024A06
	s_mov_b64 exec, s[36:37]                                   // 000000007D9C: BEFE0124
	v_mov_b32_e32 v6, v49                                      // 000000007DA0: 7E0C0331
	s_mov_b64 s[60:61], 0                                      // 000000007DA4: BEBC0180
	v_readlane_b32 s82, v3, 6                                  // 000000007DA8: D2890052 00010D03
	s_and_b32 s82, s82, 0xffffff                               // 000000007DB0: 8652FF52 00FFFFFF
	s_cmp_lt_u32 s82, s66                                      // 000000007DB8: BF0A4252
	s_cselect_b32 s20, s36, s60                                // 000000007DBC: 85143C24
	v_readlane_b32 s82, v3, 7                                  // 000000007DC0: D2890052 00010F03
	s_and_b32 s82, s82, 0xffffff                               // 000000007DC8: 8652FF52 00FFFFFF
	s_cmp_lt_u32 s82, s66                                      // 000000007DD0: BF0A4252
	s_cselect_b32 s21, s36, s60                                // 000000007DD4: 85153C24
	s_mov_b64 exec, s[20:21]                                   // 000000007DD8: BEFE0114
	buffer_store_dword v69, v6, s[8:11], 0 offen               // 000000007DDC: E0701000 80024506
	buffer_store_dword v71, v6, s[8:11], 0 offen offset:128    // 000000007DE4: E0701080 80024706
	buffer_store_dword v73, v6, s[8:11], 0 offen offset:256    // 000000007DEC: E0701100 80024906
	buffer_store_dword v75, v6, s[8:11], 0 offen offset:384    // 000000007DF4: E0701180 80024B06
	s_mov_b64 exec, s[36:37]                                   // 000000007DFC: BEFE0124
	v_mov_b32_e32 v6, v50                                      // 000000007E00: 7E0C0332
	s_mov_b64 s[60:61], 0                                      // 000000007E04: BEBC0180
	v_readlane_b32 s82, v3, 8                                  // 000000007E08: D2890052 00011103
	s_and_b32 s82, s82, 0xffffff                               // 000000007E10: 8652FF52 00FFFFFF
	s_cmp_lt_u32 s82, s66                                      // 000000007E18: BF0A4252
	s_cselect_b32 s20, s36, s60                                // 000000007E1C: 85143C24
	v_readlane_b32 s82, v3, 9                                  // 000000007E20: D2890052 00011303
	s_and_b32 s82, s82, 0xffffff                               // 000000007E28: 8652FF52 00FFFFFF
	s_cmp_lt_u32 s82, s66                                      // 000000007E30: BF0A4252
	s_cselect_b32 s21, s36, s60                                // 000000007E34: 85153C24
	s_mov_b64 exec, s[20:21]                                   // 000000007E38: BEFE0114
	buffer_store_dword v76, v6, s[8:11], 0 offen               // 000000007E3C: E0701000 80024C06
	buffer_store_dword v78, v6, s[8:11], 0 offen offset:128    // 000000007E44: E0701080 80024E06
	buffer_store_dword v80, v6, s[8:11], 0 offen offset:256    // 000000007E4C: E0701100 80025006
	buffer_store_dword v82, v6, s[8:11], 0 offen offset:384    // 000000007E54: E0701180 80025206
	s_mov_b64 exec, s[36:37]                                   // 000000007E5C: BEFE0124
	v_mov_b32_e32 v6, v51                                      // 000000007E60: 7E0C0333
	s_mov_b64 s[60:61], 0                                      // 000000007E64: BEBC0180
	v_readlane_b32 s82, v3, 10                                 // 000000007E68: D2890052 00011503
	s_and_b32 s82, s82, 0xffffff                               // 000000007E70: 8652FF52 00FFFFFF
	s_cmp_lt_u32 s82, s66                                      // 000000007E78: BF0A4252
	s_cselect_b32 s20, s36, s60                                // 000000007E7C: 85143C24
	v_readlane_b32 s82, v3, 11                                 // 000000007E80: D2890052 00011703
	s_and_b32 s82, s82, 0xffffff                               // 000000007E88: 8652FF52 00FFFFFF
	s_cmp_lt_u32 s82, s66                                      // 000000007E90: BF0A4252
	s_cselect_b32 s21, s36, s60                                // 000000007E94: 85153C24
	s_mov_b64 exec, s[20:21]                                   // 000000007E98: BEFE0114
	buffer_store_dword v77, v6, s[8:11], 0 offen               // 000000007E9C: E0701000 80024D06
	buffer_store_dword v79, v6, s[8:11], 0 offen offset:128    // 000000007EA4: E0701080 80024F06
	buffer_store_dword v81, v6, s[8:11], 0 offen offset:256    // 000000007EAC: E0701100 80025106
	buffer_store_dword v83, v6, s[8:11], 0 offen offset:384    // 000000007EB4: E0701180 80025306
	s_mov_b64 exec, s[36:37]                                   // 000000007EBC: BEFE0124
	v_mov_b32_e32 v6, v52                                      // 000000007EC0: 7E0C0334
	s_mov_b64 s[60:61], 0                                      // 000000007EC4: BEBC0180
	v_readlane_b32 s82, v3, 12                                 // 000000007EC8: D2890052 00011903
	s_and_b32 s82, s82, 0xffffff                               // 000000007ED0: 8652FF52 00FFFFFF
	s_cmp_lt_u32 s82, s66                                      // 000000007ED8: BF0A4252
	s_cselect_b32 s20, s36, s60                                // 000000007EDC: 85143C24
	v_readlane_b32 s82, v3, 13                                 // 000000007EE0: D2890052 00011B03
	s_and_b32 s82, s82, 0xffffff                               // 000000007EE8: 8652FF52 00FFFFFF
	s_cmp_lt_u32 s82, s66                                      // 000000007EF0: BF0A4252
	s_cselect_b32 s21, s36, s60                                // 000000007EF4: 85153C24
	s_mov_b64 exec, s[20:21]                                   // 000000007EF8: BEFE0114
	buffer_store_dword v84, v6, s[8:11], 0 offen               // 000000007EFC: E0701000 80025406
	buffer_store_dword v86, v6, s[8:11], 0 offen offset:128    // 000000007F04: E0701080 80025606
	buffer_store_dword v88, v6, s[8:11], 0 offen offset:256    // 000000007F0C: E0701100 80025806
	buffer_store_dword v90, v6, s[8:11], 0 offen offset:384    // 000000007F14: E0701180 80025A06
	s_mov_b64 exec, s[36:37]                                   // 000000007F1C: BEFE0124
	v_mov_b32_e32 v6, v53                                      // 000000007F20: 7E0C0335
	s_mov_b64 s[60:61], 0                                      // 000000007F24: BEBC0180
	v_readlane_b32 s82, v3, 14                                 // 000000007F28: D2890052 00011D03
	s_and_b32 s82, s82, 0xffffff                               // 000000007F30: 8652FF52 00FFFFFF
	s_cmp_lt_u32 s82, s66                                      // 000000007F38: BF0A4252
	s_cselect_b32 s20, s36, s60                                // 000000007F3C: 85143C24
	v_readlane_b32 s82, v3, 15                                 // 000000007F40: D2890052 00011F03
	s_and_b32 s82, s82, 0xffffff                               // 000000007F48: 8652FF52 00FFFFFF
	s_cmp_lt_u32 s82, s66                                      // 000000007F50: BF0A4252
	s_cselect_b32 s21, s36, s60                                // 000000007F54: 85153C24
	s_mov_b64 exec, s[20:21]                                   // 000000007F58: BEFE0114
	buffer_store_dword v85, v6, s[8:11], 0 offen               // 000000007F5C: E0701000 80025506
	buffer_store_dword v87, v6, s[8:11], 0 offen offset:128    // 000000007F64: E0701080 80025706
	buffer_store_dword v89, v6, s[8:11], 0 offen offset:256    // 000000007F6C: E0701100 80025906
	buffer_store_dword v91, v6, s[8:11], 0 offen offset:384    // 000000007F74: E0701180 80025B06
	s_mov_b64 exec, s[36:37]                                   // 000000007F7C: BEFE0124
	s_branch label_32BE                                        // 000000007F80: BF821D5A

0000000000007f84 <label_1561>:
	ds_write_b64 v20, v[60:61]                                 // 000000007F84: D89A0000 00003C14
	ds_write_b64 v20, v[64:65] offset:8704                     // 000000007F8C: D89A2200 00004014
	ds_write_b64 v20, v[68:69] offset:17408                    // 000000007F94: D89A4400 00004414
	ds_write_b64 v20, v[72:73] offset:26112                    // 000000007F9C: D89A6600 00004814
	ds_write_b64 v20, v[76:77] offset:2176                     // 000000007FA4: D89A0880 00004C14
	ds_write_b64 v20, v[80:81] offset:10880                    // 000000007FAC: D89A2A80 00005014
	ds_write_b64 v20, v[84:85] offset:19584                    // 000000007FB4: D89A4C80 00005414
	ds_write_b64 v20, v[88:89] offset:28288                    // 000000007FBC: D89A6E80 00005814
	ds_write_b64 v20, v[92:93] offset:4352                     // 000000007FC4: D89A1100 00005C14
	ds_write_b64 v20, v[96:97] offset:13056                    // 000000007FCC: D89A3300 00006014
	ds_write_b64 v20, v[100:101] offset:21760                  // 000000007FD4: D89A5500 00006414
	ds_write_b64 v20, v[104:105] offset:30464                  // 000000007FDC: D89A7700 00006814
	ds_write_b64 v20, v[108:109] offset:6528                   // 000000007FE4: D89A1980 00006C14
	ds_write_b64 v20, v[112:113] offset:15232                  // 000000007FEC: D89A3B80 00007014
	ds_write_b64 v20, v[116:117] offset:23936                  // 000000007FF4: D89A5D80 00007414
	ds_write_b64 v20, v[120:121] offset:32640                  // 000000007FFC: D89A7F80 00007814
	v_lshrrev_b32_e32 v4, 5, v0                                // 000000008004: 20080085
	v_xor_b32_e32 v5, 1, v4                                    // 000000008008: 2A0A0881
	s_mul_i32 s60, s65, 2                                      // 00000000800C: 923C8241
	s_cmp_eq_u32 s88, 0                                        // 000000008010: BF068058
	s_cselect_b32 s61, 1, 4                                    // 000000008014: 853D8481
	s_mul_i32 s60, s61, s60                                    // 000000008018: 923C3C3D
	v_readlane_b32 s82, v3, 0                                  // 00000000801C: D2890052 00010103
	s_lshr_b32 s61, s82, 24                                    // 000000008024: 8F3D9852
	s_and_b32 s82, s82, 0xffffff                               // 000000008028: 8652FF52 00FFFFFF
	s_mul_i32 s82, s82, s71                                    // 000000008030: 92524752
	s_mul_i32 s61, s60, s61                                    // 000000008034: 923D3D3C
	s_add_u32 s82, s82, s61                                    // 000000008038: 80523D52
	v_mul_lo_u32 v6, v5, s82                                   // 00000000803C: D2850006 0000A505
	v_readlane_b32 s82, v3, 1                                  // 000000008044: D2890052 00010303
	s_lshr_b32 s61, s82, 24                                    // 00000000804C: 8F3D9852
	s_and_b32 s82, s82, 0xffffff                               // 000000008050: 8652FF52 00FFFFFF
	s_mul_i32 s82, s82, s71                                    // 000000008058: 92524752
	s_mul_i32 s61, s60, s61                                    // 00000000805C: 923D3D3C
	s_add_u32 s82, s82, s61                                    // 000000008060: 80523D52
	v_mul_lo_u32 v7, v4, s82                                   // 000000008064: D2850007 0000A504
	v_add_u32_e32 v46, v6, v7                                  // 00000000806C: 685C0F06
	v_readlane_b32 s82, v3, 2                                  // 000000008070: D2890052 00010503
	s_lshr_b32 s61, s82, 24                                    // 000000008078: 8F3D9852
	s_and_b32 s82, s82, 0xffffff                               // 00000000807C: 8652FF52 00FFFFFF
	s_mul_i32 s82, s82, s71                                    // 000000008084: 92524752
	s_mul_i32 s61, s60, s61                                    // 000000008088: 923D3D3C
	s_add_u32 s82, s82, s61                                    // 00000000808C: 80523D52
	v_mul_lo_u32 v6, v5, s82                                   // 000000008090: D2850006 0000A505
	v_readlane_b32 s82, v3, 3                                  // 000000008098: D2890052 00010703
	s_lshr_b32 s61, s82, 24                                    // 0000000080A0: 8F3D9852
	s_and_b32 s82, s82, 0xffffff                               // 0000000080A4: 8652FF52 00FFFFFF
	s_mul_i32 s82, s82, s71                                    // 0000000080AC: 92524752
	s_mul_i32 s61, s60, s61                                    // 0000000080B0: 923D3D3C
	s_add_u32 s82, s82, s61                                    // 0000000080B4: 80523D52
	v_mul_lo_u32 v7, v4, s82                                   // 0000000080B8: D2850007 0000A504
	v_add_u32_e32 v47, v6, v7                                  // 0000000080C0: 685E0F06
	v_readlane_b32 s82, v3, 4                                  // 0000000080C4: D2890052 00010903
	s_lshr_b32 s61, s82, 24                                    // 0000000080CC: 8F3D9852
	s_and_b32 s82, s82, 0xffffff                               // 0000000080D0: 8652FF52 00FFFFFF
	s_mul_i32 s82, s82, s71                                    // 0000000080D8: 92524752
	s_mul_i32 s61, s60, s61                                    // 0000000080DC: 923D3D3C
	s_add_u32 s82, s82, s61                                    // 0000000080E0: 80523D52
	v_mul_lo_u32 v6, v5, s82                                   // 0000000080E4: D2850006 0000A505
	v_readlane_b32 s82, v3, 5                                  // 0000000080EC: D2890052 00010B03
	s_lshr_b32 s61, s82, 24                                    // 0000000080F4: 8F3D9852
	s_and_b32 s82, s82, 0xffffff                               // 0000000080F8: 8652FF52 00FFFFFF
	s_mul_i32 s82, s82, s71                                    // 000000008100: 92524752
	s_mul_i32 s61, s60, s61                                    // 000000008104: 923D3D3C
	s_add_u32 s82, s82, s61                                    // 000000008108: 80523D52
	v_mul_lo_u32 v7, v4, s82                                   // 00000000810C: D2850007 0000A504
	v_add_u32_e32 v48, v6, v7                                  // 000000008114: 68600F06
	v_readlane_b32 s82, v3, 6                                  // 000000008118: D2890052 00010D03
	s_lshr_b32 s61, s82, 24                                    // 000000008120: 8F3D9852
	s_and_b32 s82, s82, 0xffffff                               // 000000008124: 8652FF52 00FFFFFF
	s_mul_i32 s82, s82, s71                                    // 00000000812C: 92524752
	s_mul_i32 s61, s60, s61                                    // 000000008130: 923D3D3C
	s_add_u32 s82, s82, s61                                    // 000000008134: 80523D52
	v_mul_lo_u32 v6, v5, s82                                   // 000000008138: D2850006 0000A505
	v_readlane_b32 s82, v3, 7                                  // 000000008140: D2890052 00010F03
	s_lshr_b32 s61, s82, 24                                    // 000000008148: 8F3D9852
	s_and_b32 s82, s82, 0xffffff                               // 00000000814C: 8652FF52 00FFFFFF
	s_mul_i32 s82, s82, s71                                    // 000000008154: 92524752
	s_mul_i32 s61, s60, s61                                    // 000000008158: 923D3D3C
	s_add_u32 s82, s82, s61                                    // 00000000815C: 80523D52
	v_mul_lo_u32 v7, v4, s82                                   // 000000008160: D2850007 0000A504
	v_add_u32_e32 v49, v6, v7                                  // 000000008168: 68620F06
	v_readlane_b32 s82, v3, 8                                  // 00000000816C: D2890052 00011103
	s_lshr_b32 s61, s82, 24                                    // 000000008174: 8F3D9852
	s_and_b32 s82, s82, 0xffffff                               // 000000008178: 8652FF52 00FFFFFF
	s_mul_i32 s82, s82, s71                                    // 000000008180: 92524752
	s_mul_i32 s61, s60, s61                                    // 000000008184: 923D3D3C
	s_add_u32 s82, s82, s61                                    // 000000008188: 80523D52
	v_mul_lo_u32 v6, v5, s82                                   // 00000000818C: D2850006 0000A505
	v_readlane_b32 s82, v3, 9                                  // 000000008194: D2890052 00011303
	s_lshr_b32 s61, s82, 24                                    // 00000000819C: 8F3D9852
	s_and_b32 s82, s82, 0xffffff                               // 0000000081A0: 8652FF52 00FFFFFF
	s_mul_i32 s82, s82, s71                                    // 0000000081A8: 92524752
	s_mul_i32 s61, s60, s61                                    // 0000000081AC: 923D3D3C
	s_add_u32 s82, s82, s61                                    // 0000000081B0: 80523D52
	v_mul_lo_u32 v7, v4, s82                                   // 0000000081B4: D2850007 0000A504
	v_add_u32_e32 v50, v6, v7                                  // 0000000081BC: 68640F06
	v_readlane_b32 s82, v3, 10                                 // 0000000081C0: D2890052 00011503
	s_lshr_b32 s61, s82, 24                                    // 0000000081C8: 8F3D9852
	s_and_b32 s82, s82, 0xffffff                               // 0000000081CC: 8652FF52 00FFFFFF
	s_mul_i32 s82, s82, s71                                    // 0000000081D4: 92524752
	s_mul_i32 s61, s60, s61                                    // 0000000081D8: 923D3D3C
	s_add_u32 s82, s82, s61                                    // 0000000081DC: 80523D52
	v_mul_lo_u32 v6, v5, s82                                   // 0000000081E0: D2850006 0000A505
	v_readlane_b32 s82, v3, 11                                 // 0000000081E8: D2890052 00011703
	s_lshr_b32 s61, s82, 24                                    // 0000000081F0: 8F3D9852
	s_and_b32 s82, s82, 0xffffff                               // 0000000081F4: 8652FF52 00FFFFFF
	s_mul_i32 s82, s82, s71                                    // 0000000081FC: 92524752
	s_mul_i32 s61, s60, s61                                    // 000000008200: 923D3D3C
	s_add_u32 s82, s82, s61                                    // 000000008204: 80523D52
	v_mul_lo_u32 v7, v4, s82                                   // 000000008208: D2850007 0000A504
	v_add_u32_e32 v51, v6, v7                                  // 000000008210: 68660F06
	v_readlane_b32 s82, v3, 12                                 // 000000008214: D2890052 00011903
	s_lshr_b32 s61, s82, 24                                    // 00000000821C: 8F3D9852
	s_and_b32 s82, s82, 0xffffff                               // 000000008220: 8652FF52 00FFFFFF
	s_mul_i32 s82, s82, s71                                    // 000000008228: 92524752
	s_mul_i32 s61, s60, s61                                    // 00000000822C: 923D3D3C
	s_add_u32 s82, s82, s61                                    // 000000008230: 80523D52
	v_mul_lo_u32 v6, v5, s82                                   // 000000008234: D2850006 0000A505
	v_readlane_b32 s82, v3, 13                                 // 00000000823C: D2890052 00011B03
	s_lshr_b32 s61, s82, 24                                    // 000000008244: 8F3D9852
	s_and_b32 s82, s82, 0xffffff                               // 000000008248: 8652FF52 00FFFFFF
	s_mul_i32 s82, s82, s71                                    // 000000008250: 92524752
	s_mul_i32 s61, s60, s61                                    // 000000008254: 923D3D3C
	s_add_u32 s82, s82, s61                                    // 000000008258: 80523D52
	v_mul_lo_u32 v7, v4, s82                                   // 00000000825C: D2850007 0000A504
	v_add_u32_e32 v52, v6, v7                                  // 000000008264: 68680F06
	v_readlane_b32 s82, v3, 14                                 // 000000008268: D2890052 00011D03
	s_lshr_b32 s61, s82, 24                                    // 000000008270: 8F3D9852
	s_and_b32 s82, s82, 0xffffff                               // 000000008274: 8652FF52 00FFFFFF
	s_mul_i32 s82, s82, s71                                    // 00000000827C: 92524752
	s_mul_i32 s61, s60, s61                                    // 000000008280: 923D3D3C
	s_add_u32 s82, s82, s61                                    // 000000008284: 80523D52
	v_mul_lo_u32 v6, v5, s82                                   // 000000008288: D2850006 0000A505
	v_readlane_b32 s82, v3, 15                                 // 000000008290: D2890052 00011F03
	s_lshr_b32 s61, s82, 24                                    // 000000008298: 8F3D9852
	s_and_b32 s82, s82, 0xffffff                               // 00000000829C: 8652FF52 00FFFFFF
	s_mul_i32 s82, s82, s71                                    // 0000000082A4: 92524752
	s_mul_i32 s61, s60, s61                                    // 0000000082A8: 923D3D3C
	s_add_u32 s82, s82, s61                                    // 0000000082AC: 80523D52
	v_mul_lo_u32 v7, v4, s82                                   // 0000000082B0: D2850007 0000A504
	v_add_u32_e32 v53, v6, v7                                  // 0000000082B8: 686A0F06
	v_and_b32_e32 v4, 31, v0                                   // 0000000082BC: 2608009F
	v_lshrrev_b32_e32 v4, 1, v4                                // 0000000082C0: 20080881
	s_cmp_eq_u32 s88, 0                                        // 0000000082C4: BF068058
	s_cselect_b32 s61, 2, 4                                    // 0000000082C8: 853D8482
	v_mul_lo_u32 v4, v4, s61                                   // 0000000082CC: D2850004 00007B04
	v_and_b32_e64 v5, v0, 1                                    // 0000000082D4: D1130005 00010300
	v_add_u32_e32 v4, v4, v5                                   // 0000000082DC: 68080B04
	v_lshlrev_b32_e32 v4, 2, v4                                // 0000000082E0: 24080882
	v_add_u32_e32 v46, v46, v4                                 // 0000000082E4: 685C092E
	v_add_u32_e32 v47, v47, v4                                 // 0000000082E8: 685E092F
	v_add_u32_e32 v48, v48, v4                                 // 0000000082EC: 68600930
	v_add_u32_e32 v49, v49, v4                                 // 0000000082F0: 68620931
	v_add_u32_e32 v50, v50, v4                                 // 0000000082F4: 68640932
	v_add_u32_e32 v51, v51, v4                                 // 0000000082F8: 68660933
	v_add_u32_e32 v52, v52, v4                                 // 0000000082FC: 68680934
	v_add_u32_e32 v53, v53, v4                                 // 000000008300: 686A0935
	s_waitcnt lgkmcnt(0)                                       // 000000008304: BF8CC07F
	s_barrier                                                  // 000000008308: BF8A0000
	ds_read_b32 v60, v21                                       // 00000000830C: D86C0000 3C000015
	ds_read_b32 v61, v21 offset:64                             // 000000008314: D86C0040 3D000015
	ds_read_b32 v64, v21 offset:2176                           // 00000000831C: D86C0880 40000015
	ds_read_b32 v65, v21 offset:2240                           // 000000008324: D86C08C0 41000015
	ds_read_b32 v68, v21 offset:4352                           // 00000000832C: D86C1100 44000015
	ds_read_b32 v69, v21 offset:4416                           // 000000008334: D86C1140 45000015
	ds_read_b32 v72, v21 offset:6528                           // 00000000833C: D86C1980 48000015
	ds_read_b32 v73, v21 offset:6592                           // 000000008344: D86C19C0 49000015
	ds_read_b32 v76, v21 offset:8704                           // 00000000834C: D86C2200 4C000015
	ds_read_b32 v77, v21 offset:8768                           // 000000008354: D86C2240 4D000015
	ds_read_b32 v80, v21 offset:10880                          // 00000000835C: D86C2A80 50000015
	ds_read_b32 v81, v21 offset:10944                          // 000000008364: D86C2AC0 51000015
	ds_read_b32 v84, v21 offset:13056                          // 00000000836C: D86C3300 54000015
	ds_read_b32 v85, v21 offset:13120                          // 000000008374: D86C3340 55000015
	ds_read_b32 v88, v21 offset:15232                          // 00000000837C: D86C3B80 58000015
	ds_read_b32 v89, v21 offset:15296                          // 000000008384: D86C3BC0 59000015
	ds_read_b32 v92, v21 offset:17408                          // 00000000838C: D86C4400 5C000015
	ds_read_b32 v93, v21 offset:17472                          // 000000008394: D86C4440 5D000015
	ds_read_b32 v96, v21 offset:19584                          // 00000000839C: D86C4C80 60000015
	ds_read_b32 v97, v21 offset:19648                          // 0000000083A4: D86C4CC0 61000015
	ds_read_b32 v100, v21 offset:21760                         // 0000000083AC: D86C5500 64000015
	ds_read_b32 v101, v21 offset:21824                         // 0000000083B4: D86C5540 65000015
	ds_read_b32 v104, v21 offset:23936                         // 0000000083BC: D86C5D80 68000015
	ds_read_b32 v105, v21 offset:24000                         // 0000000083C4: D86C5DC0 69000015
	ds_read_b32 v108, v21 offset:26112                         // 0000000083CC: D86C6600 6C000015
	ds_read_b32 v109, v21 offset:26176                         // 0000000083D4: D86C6640 6D000015
	ds_read_b32 v112, v21 offset:28288                         // 0000000083DC: D86C6E80 70000015
	ds_read_b32 v113, v21 offset:28352                         // 0000000083E4: D86C6EC0 71000015
	ds_read_b32 v116, v21 offset:30464                         // 0000000083EC: D86C7700 74000015
	ds_read_b32 v117, v21 offset:30528                         // 0000000083F4: D86C7740 75000015
	ds_read_b32 v120, v21 offset:32640                         // 0000000083FC: D86C7F80 78000015
	ds_read_b32 v121, v21 offset:32704                         // 000000008404: D86C7FC0 79000015
	s_waitcnt lgkmcnt(0)                                       // 00000000840C: BF8CC07F
	s_mov_b32 s36, -1                                          // 000000008410: BEA400C1
	s_mov_b32 s37, -1                                          // 000000008414: BEA500C1
	v_mov_b32_e32 v7, 0                                        // 000000008418: 7E0E0280
	s_mov_b64 exec, s[36:37]                                   // 00000000841C: BEFE0124
	v_mov_b32_e32 v6, v46                                      // 000000008420: 7E0C032E
	s_mov_b64 s[60:61], 0                                      // 000000008424: BEBC0180
	v_readlane_b32 s82, v3, 0                                  // 000000008428: D2890052 00010103
	s_and_b32 s82, s82, 0xffffff                               // 000000008430: 8652FF52 00FFFFFF
	s_cmp_lt_u32 s82, s66                                      // 000000008438: BF0A4252
	s_cselect_b32 s20, s36, s60                                // 00000000843C: 85143C24
	v_readlane_b32 s82, v3, 1                                  // 000000008440: D2890052 00010303
	s_and_b32 s82, s82, 0xffffff                               // 000000008448: 8652FF52 00FFFFFF
	s_cmp_lt_u32 s82, s66                                      // 000000008450: BF0A4252
	s_cselect_b32 s21, s36, s60                                // 000000008454: 85153C24
	s_mov_b64 exec, s[20:21]                                   // 000000008458: BEFE0114
	global_atomic_add_f32 v6, v60, s[8:9]                      // 00000000845C: DD348000 00083C06
	global_atomic_add_f32 v6, v64, s[8:9] offset:256           // 000000008464: DD348100 00084006
	global_atomic_add_f32 v6, v68, s[8:9] offset:512           // 00000000846C: DD348200 00084406
	global_atomic_add_f32 v6, v72, s[8:9] offset:768           // 000000008474: DD348300 00084806
	s_mov_b64 exec, s[36:37]                                   // 00000000847C: BEFE0124
	v_mov_b32_e32 v6, v47                                      // 000000008480: 7E0C032F
	s_mov_b64 s[60:61], 0                                      // 000000008484: BEBC0180
	v_readlane_b32 s82, v3, 2                                  // 000000008488: D2890052 00010503
	s_and_b32 s82, s82, 0xffffff                               // 000000008490: 8652FF52 00FFFFFF
	s_cmp_lt_u32 s82, s66                                      // 000000008498: BF0A4252
	s_cselect_b32 s20, s36, s60                                // 00000000849C: 85143C24
	v_readlane_b32 s82, v3, 3                                  // 0000000084A0: D2890052 00010703
	s_and_b32 s82, s82, 0xffffff                               // 0000000084A8: 8652FF52 00FFFFFF
	s_cmp_lt_u32 s82, s66                                      // 0000000084B0: BF0A4252
	s_cselect_b32 s21, s36, s60                                // 0000000084B4: 85153C24
	s_mov_b64 exec, s[20:21]                                   // 0000000084B8: BEFE0114
	global_atomic_add_f32 v6, v61, s[8:9]                      // 0000000084BC: DD348000 00083D06
	global_atomic_add_f32 v6, v65, s[8:9] offset:256           // 0000000084C4: DD348100 00084106
	global_atomic_add_f32 v6, v69, s[8:9] offset:512           // 0000000084CC: DD348200 00084506
	global_atomic_add_f32 v6, v73, s[8:9] offset:768           // 0000000084D4: DD348300 00084906
	s_mov_b64 exec, s[36:37]                                   // 0000000084DC: BEFE0124
	v_mov_b32_e32 v6, v48                                      // 0000000084E0: 7E0C0330
	s_mov_b64 s[60:61], 0                                      // 0000000084E4: BEBC0180
	v_readlane_b32 s82, v3, 4                                  // 0000000084E8: D2890052 00010903
	s_and_b32 s82, s82, 0xffffff                               // 0000000084F0: 8652FF52 00FFFFFF
	s_cmp_lt_u32 s82, s66                                      // 0000000084F8: BF0A4252
	s_cselect_b32 s20, s36, s60                                // 0000000084FC: 85143C24
	v_readlane_b32 s82, v3, 5                                  // 000000008500: D2890052 00010B03
	s_and_b32 s82, s82, 0xffffff                               // 000000008508: 8652FF52 00FFFFFF
	s_cmp_lt_u32 s82, s66                                      // 000000008510: BF0A4252
	s_cselect_b32 s21, s36, s60                                // 000000008514: 85153C24
	s_mov_b64 exec, s[20:21]                                   // 000000008518: BEFE0114
	global_atomic_add_f32 v6, v76, s[8:9]                      // 00000000851C: DD348000 00084C06
	global_atomic_add_f32 v6, v80, s[8:9] offset:256           // 000000008524: DD348100 00085006
	global_atomic_add_f32 v6, v84, s[8:9] offset:512           // 00000000852C: DD348200 00085406
	global_atomic_add_f32 v6, v88, s[8:9] offset:768           // 000000008534: DD348300 00085806
	s_mov_b64 exec, s[36:37]                                   // 00000000853C: BEFE0124
	v_mov_b32_e32 v6, v49                                      // 000000008540: 7E0C0331
	s_mov_b64 s[60:61], 0                                      // 000000008544: BEBC0180
	v_readlane_b32 s82, v3, 6                                  // 000000008548: D2890052 00010D03
	s_and_b32 s82, s82, 0xffffff                               // 000000008550: 8652FF52 00FFFFFF
	s_cmp_lt_u32 s82, s66                                      // 000000008558: BF0A4252
	s_cselect_b32 s20, s36, s60                                // 00000000855C: 85143C24
	v_readlane_b32 s82, v3, 7                                  // 000000008560: D2890052 00010F03
	s_and_b32 s82, s82, 0xffffff                               // 000000008568: 8652FF52 00FFFFFF
	s_cmp_lt_u32 s82, s66                                      // 000000008570: BF0A4252
	s_cselect_b32 s21, s36, s60                                // 000000008574: 85153C24
	s_mov_b64 exec, s[20:21]                                   // 000000008578: BEFE0114
	global_atomic_add_f32 v6, v77, s[8:9]                      // 00000000857C: DD348000 00084D06
	global_atomic_add_f32 v6, v81, s[8:9] offset:256           // 000000008584: DD348100 00085106
	global_atomic_add_f32 v6, v85, s[8:9] offset:512           // 00000000858C: DD348200 00085506
	global_atomic_add_f32 v6, v89, s[8:9] offset:768           // 000000008594: DD348300 00085906
	s_mov_b64 exec, s[36:37]                                   // 00000000859C: BEFE0124
	v_mov_b32_e32 v6, v50                                      // 0000000085A0: 7E0C0332
	s_mov_b64 s[60:61], 0                                      // 0000000085A4: BEBC0180
	v_readlane_b32 s82, v3, 8                                  // 0000000085A8: D2890052 00011103
	s_and_b32 s82, s82, 0xffffff                               // 0000000085B0: 8652FF52 00FFFFFF
	s_cmp_lt_u32 s82, s66                                      // 0000000085B8: BF0A4252
	s_cselect_b32 s20, s36, s60                                // 0000000085BC: 85143C24
	v_readlane_b32 s82, v3, 9                                  // 0000000085C0: D2890052 00011303
	s_and_b32 s82, s82, 0xffffff                               // 0000000085C8: 8652FF52 00FFFFFF
	s_cmp_lt_u32 s82, s66                                      // 0000000085D0: BF0A4252
	s_cselect_b32 s21, s36, s60                                // 0000000085D4: 85153C24
	s_mov_b64 exec, s[20:21]                                   // 0000000085D8: BEFE0114
	global_atomic_add_f32 v6, v92, s[8:9]                      // 0000000085DC: DD348000 00085C06
	global_atomic_add_f32 v6, v96, s[8:9] offset:256           // 0000000085E4: DD348100 00086006
	global_atomic_add_f32 v6, v100, s[8:9] offset:512          // 0000000085EC: DD348200 00086406
	global_atomic_add_f32 v6, v104, s[8:9] offset:768          // 0000000085F4: DD348300 00086806
	s_mov_b64 exec, s[36:37]                                   // 0000000085FC: BEFE0124
	v_mov_b32_e32 v6, v51                                      // 000000008600: 7E0C0333
	s_mov_b64 s[60:61], 0                                      // 000000008604: BEBC0180
	v_readlane_b32 s82, v3, 10                                 // 000000008608: D2890052 00011503
	s_and_b32 s82, s82, 0xffffff                               // 000000008610: 8652FF52 00FFFFFF
	s_cmp_lt_u32 s82, s66                                      // 000000008618: BF0A4252
	s_cselect_b32 s20, s36, s60                                // 00000000861C: 85143C24
	v_readlane_b32 s82, v3, 11                                 // 000000008620: D2890052 00011703
	s_and_b32 s82, s82, 0xffffff                               // 000000008628: 8652FF52 00FFFFFF
	s_cmp_lt_u32 s82, s66                                      // 000000008630: BF0A4252
	s_cselect_b32 s21, s36, s60                                // 000000008634: 85153C24
	s_mov_b64 exec, s[20:21]                                   // 000000008638: BEFE0114
	global_atomic_add_f32 v6, v93, s[8:9]                      // 00000000863C: DD348000 00085D06
	global_atomic_add_f32 v6, v97, s[8:9] offset:256           // 000000008644: DD348100 00086106
	global_atomic_add_f32 v6, v101, s[8:9] offset:512          // 00000000864C: DD348200 00086506
	global_atomic_add_f32 v6, v105, s[8:9] offset:768          // 000000008654: DD348300 00086906
	s_mov_b64 exec, s[36:37]                                   // 00000000865C: BEFE0124
	v_mov_b32_e32 v6, v52                                      // 000000008660: 7E0C0334
	s_mov_b64 s[60:61], 0                                      // 000000008664: BEBC0180
	v_readlane_b32 s82, v3, 12                                 // 000000008668: D2890052 00011903
	s_and_b32 s82, s82, 0xffffff                               // 000000008670: 8652FF52 00FFFFFF
	s_cmp_lt_u32 s82, s66                                      // 000000008678: BF0A4252
	s_cselect_b32 s20, s36, s60                                // 00000000867C: 85143C24
	v_readlane_b32 s82, v3, 13                                 // 000000008680: D2890052 00011B03
	s_and_b32 s82, s82, 0xffffff                               // 000000008688: 8652FF52 00FFFFFF
	s_cmp_lt_u32 s82, s66                                      // 000000008690: BF0A4252
	s_cselect_b32 s21, s36, s60                                // 000000008694: 85153C24
	s_mov_b64 exec, s[20:21]                                   // 000000008698: BEFE0114
	global_atomic_add_f32 v6, v108, s[8:9]                     // 00000000869C: DD348000 00086C06
	global_atomic_add_f32 v6, v112, s[8:9] offset:256          // 0000000086A4: DD348100 00087006
	global_atomic_add_f32 v6, v116, s[8:9] offset:512          // 0000000086AC: DD348200 00087406
	global_atomic_add_f32 v6, v120, s[8:9] offset:768          // 0000000086B4: DD348300 00087806
	s_mov_b64 exec, s[36:37]                                   // 0000000086BC: BEFE0124
	v_mov_b32_e32 v6, v53                                      // 0000000086C0: 7E0C0335
	s_mov_b64 s[60:61], 0                                      // 0000000086C4: BEBC0180
	v_readlane_b32 s82, v3, 14                                 // 0000000086C8: D2890052 00011D03
	s_and_b32 s82, s82, 0xffffff                               // 0000000086D0: 8652FF52 00FFFFFF
	s_cmp_lt_u32 s82, s66                                      // 0000000086D8: BF0A4252
	s_cselect_b32 s20, s36, s60                                // 0000000086DC: 85143C24
	v_readlane_b32 s82, v3, 15                                 // 0000000086E0: D2890052 00011F03
	s_and_b32 s82, s82, 0xffffff                               // 0000000086E8: 8652FF52 00FFFFFF
	s_cmp_lt_u32 s82, s66                                      // 0000000086F0: BF0A4252
	s_cselect_b32 s21, s36, s60                                // 0000000086F4: 85153C24
	s_mov_b64 exec, s[20:21]                                   // 0000000086F8: BEFE0114
	global_atomic_add_f32 v6, v109, s[8:9]                     // 0000000086FC: DD348000 00086D06
	global_atomic_add_f32 v6, v113, s[8:9] offset:256          // 000000008704: DD348100 00087106
	global_atomic_add_f32 v6, v117, s[8:9] offset:512          // 00000000870C: DD348200 00087506
	global_atomic_add_f32 v6, v121, s[8:9] offset:768          // 000000008714: DD348300 00087906
	s_mov_b64 exec, s[36:37]                                   // 00000000871C: BEFE0124
	ds_write_b64 v20, v[62:63]                                 // 000000008720: D89A0000 00003E14
	ds_write_b64 v20, v[66:67] offset:8704                     // 000000008728: D89A2200 00004214
	ds_write_b64 v20, v[70:71] offset:17408                    // 000000008730: D89A4400 00004614
	ds_write_b64 v20, v[74:75] offset:26112                    // 000000008738: D89A6600 00004A14
	ds_write_b64 v20, v[78:79] offset:2176                     // 000000008740: D89A0880 00004E14
	ds_write_b64 v20, v[82:83] offset:10880                    // 000000008748: D89A2A80 00005214
	ds_write_b64 v20, v[86:87] offset:19584                    // 000000008750: D89A4C80 00005614
	ds_write_b64 v20, v[90:91] offset:28288                    // 000000008758: D89A6E80 00005A14
	ds_write_b64 v20, v[94:95] offset:4352                     // 000000008760: D89A1100 00005E14
	ds_write_b64 v20, v[98:99] offset:13056                    // 000000008768: D89A3300 00006214
	ds_write_b64 v20, v[102:103] offset:21760                  // 000000008770: D89A5500 00006614
	ds_write_b64 v20, v[106:107] offset:30464                  // 000000008778: D89A7700 00006A14
	ds_write_b64 v20, v[110:111] offset:6528                   // 000000008780: D89A1980 00006E14
	ds_write_b64 v20, v[114:115] offset:15232                  // 000000008788: D89A3B80 00007214
	ds_write_b64 v20, v[118:119] offset:23936                  // 000000008790: D89A5D80 00007614
	ds_write_b64 v20, v[122:123] offset:32640                  // 000000008798: D89A7F80 00007A14
	s_waitcnt lgkmcnt(0)                                       // 0000000087A0: BF8CC07F
	s_barrier                                                  // 0000000087A4: BF8A0000
	ds_read_b32 v62, v21                                       // 0000000087A8: D86C0000 3E000015
	ds_read_b32 v63, v21 offset:64                             // 0000000087B0: D86C0040 3F000015
	ds_read_b32 v66, v21 offset:2176                           // 0000000087B8: D86C0880 42000015
	ds_read_b32 v67, v21 offset:2240                           // 0000000087C0: D86C08C0 43000015
	ds_read_b32 v70, v21 offset:4352                           // 0000000087C8: D86C1100 46000015
	ds_read_b32 v71, v21 offset:4416                           // 0000000087D0: D86C1140 47000015
	ds_read_b32 v74, v21 offset:6528                           // 0000000087D8: D86C1980 4A000015
	ds_read_b32 v75, v21 offset:6592                           // 0000000087E0: D86C19C0 4B000015
	ds_read_b32 v78, v21 offset:8704                           // 0000000087E8: D86C2200 4E000015
	ds_read_b32 v79, v21 offset:8768                           // 0000000087F0: D86C2240 4F000015
	ds_read_b32 v82, v21 offset:10880                          // 0000000087F8: D86C2A80 52000015
	ds_read_b32 v83, v21 offset:10944                          // 000000008800: D86C2AC0 53000015
	ds_read_b32 v86, v21 offset:13056                          // 000000008808: D86C3300 56000015
	ds_read_b32 v87, v21 offset:13120                          // 000000008810: D86C3340 57000015
	ds_read_b32 v90, v21 offset:15232                          // 000000008818: D86C3B80 5A000015
	ds_read_b32 v91, v21 offset:15296                          // 000000008820: D86C3BC0 5B000015
	ds_read_b32 v94, v21 offset:17408                          // 000000008828: D86C4400 5E000015
	ds_read_b32 v95, v21 offset:17472                          // 000000008830: D86C4440 5F000015
	ds_read_b32 v98, v21 offset:19584                          // 000000008838: D86C4C80 62000015
	ds_read_b32 v99, v21 offset:19648                          // 000000008840: D86C4CC0 63000015
	ds_read_b32 v102, v21 offset:21760                         // 000000008848: D86C5500 66000015
	ds_read_b32 v103, v21 offset:21824                         // 000000008850: D86C5540 67000015
	ds_read_b32 v106, v21 offset:23936                         // 000000008858: D86C5D80 6A000015
	ds_read_b32 v107, v21 offset:24000                         // 000000008860: D86C5DC0 6B000015
	ds_read_b32 v110, v21 offset:26112                         // 000000008868: D86C6600 6E000015
	ds_read_b32 v111, v21 offset:26176                         // 000000008870: D86C6640 6F000015
	ds_read_b32 v114, v21 offset:28288                         // 000000008878: D86C6E80 72000015
	ds_read_b32 v115, v21 offset:28352                         // 000000008880: D86C6EC0 73000015
	ds_read_b32 v118, v21 offset:30464                         // 000000008888: D86C7700 76000015
	ds_read_b32 v119, v21 offset:30528                         // 000000008890: D86C7740 77000015
	ds_read_b32 v122, v21 offset:32640                         // 000000008898: D86C7F80 7A000015
	ds_read_b32 v123, v21 offset:32704                         // 0000000088A0: D86C7FC0 7B000015
	s_waitcnt lgkmcnt(0)                                       // 0000000088A8: BF8CC07F
	v_mov_b32_e32 v7, 0                                        // 0000000088AC: 7E0E0280
	s_mov_b64 exec, s[36:37]                                   // 0000000088B0: BEFE0124
	v_mov_b32_e32 v6, v46                                      // 0000000088B4: 7E0C032E
	s_mov_b64 s[60:61], 0                                      // 0000000088B8: BEBC0180
	v_readlane_b32 s82, v3, 0                                  // 0000000088BC: D2890052 00010103
	s_and_b32 s82, s82, 0xffffff                               // 0000000088C4: 8652FF52 00FFFFFF
	s_cmp_lt_u32 s82, s66                                      // 0000000088CC: BF0A4252
	s_cselect_b32 s20, s36, s60                                // 0000000088D0: 85143C24
	v_readlane_b32 s82, v3, 1                                  // 0000000088D4: D2890052 00010303
	s_and_b32 s82, s82, 0xffffff                               // 0000000088DC: 8652FF52 00FFFFFF
	s_cmp_lt_u32 s82, s66                                      // 0000000088E4: BF0A4252
	s_cselect_b32 s21, s36, s60                                // 0000000088E8: 85153C24
	s_mov_b64 exec, s[20:21]                                   // 0000000088EC: BEFE0114
	global_atomic_add_f32 v6, v62, s[8:9] offset:8             // 0000000088F0: DD348008 00083E06
	global_atomic_add_f32 v6, v66, s[8:9] offset:264           // 0000000088F8: DD348108 00084206
	global_atomic_add_f32 v6, v70, s[8:9] offset:520           // 000000008900: DD348208 00084606
	global_atomic_add_f32 v6, v74, s[8:9] offset:776           // 000000008908: DD348308 00084A06
	s_mov_b64 exec, s[36:37]                                   // 000000008910: BEFE0124
	v_mov_b32_e32 v6, v47                                      // 000000008914: 7E0C032F
	s_mov_b64 s[60:61], 0                                      // 000000008918: BEBC0180
	v_readlane_b32 s82, v3, 2                                  // 00000000891C: D2890052 00010503
	s_and_b32 s82, s82, 0xffffff                               // 000000008924: 8652FF52 00FFFFFF
	s_cmp_lt_u32 s82, s66                                      // 00000000892C: BF0A4252
	s_cselect_b32 s20, s36, s60                                // 000000008930: 85143C24
	v_readlane_b32 s82, v3, 3                                  // 000000008934: D2890052 00010703
	s_and_b32 s82, s82, 0xffffff                               // 00000000893C: 8652FF52 00FFFFFF
	s_cmp_lt_u32 s82, s66                                      // 000000008944: BF0A4252
	s_cselect_b32 s21, s36, s60                                // 000000008948: 85153C24
	s_mov_b64 exec, s[20:21]                                   // 00000000894C: BEFE0114
	global_atomic_add_f32 v6, v63, s[8:9] offset:8             // 000000008950: DD348008 00083F06
	global_atomic_add_f32 v6, v67, s[8:9] offset:264           // 000000008958: DD348108 00084306
	global_atomic_add_f32 v6, v71, s[8:9] offset:520           // 000000008960: DD348208 00084706
	global_atomic_add_f32 v6, v75, s[8:9] offset:776           // 000000008968: DD348308 00084B06
	s_mov_b64 exec, s[36:37]                                   // 000000008970: BEFE0124
	v_mov_b32_e32 v6, v48                                      // 000000008974: 7E0C0330
	s_mov_b64 s[60:61], 0                                      // 000000008978: BEBC0180
	v_readlane_b32 s82, v3, 4                                  // 00000000897C: D2890052 00010903
	s_and_b32 s82, s82, 0xffffff                               // 000000008984: 8652FF52 00FFFFFF
	s_cmp_lt_u32 s82, s66                                      // 00000000898C: BF0A4252
	s_cselect_b32 s20, s36, s60                                // 000000008990: 85143C24
	v_readlane_b32 s82, v3, 5                                  // 000000008994: D2890052 00010B03
	s_and_b32 s82, s82, 0xffffff                               // 00000000899C: 8652FF52 00FFFFFF
	s_cmp_lt_u32 s82, s66                                      // 0000000089A4: BF0A4252
	s_cselect_b32 s21, s36, s60                                // 0000000089A8: 85153C24
	s_mov_b64 exec, s[20:21]                                   // 0000000089AC: BEFE0114
	global_atomic_add_f32 v6, v78, s[8:9] offset:8             // 0000000089B0: DD348008 00084E06
	global_atomic_add_f32 v6, v82, s[8:9] offset:264           // 0000000089B8: DD348108 00085206
	global_atomic_add_f32 v6, v86, s[8:9] offset:520           // 0000000089C0: DD348208 00085606
	global_atomic_add_f32 v6, v90, s[8:9] offset:776           // 0000000089C8: DD348308 00085A06
	s_mov_b64 exec, s[36:37]                                   // 0000000089D0: BEFE0124
	v_mov_b32_e32 v6, v49                                      // 0000000089D4: 7E0C0331
	s_mov_b64 s[60:61], 0                                      // 0000000089D8: BEBC0180
	v_readlane_b32 s82, v3, 6                                  // 0000000089DC: D2890052 00010D03
	s_and_b32 s82, s82, 0xffffff                               // 0000000089E4: 8652FF52 00FFFFFF
	s_cmp_lt_u32 s82, s66                                      // 0000000089EC: BF0A4252
	s_cselect_b32 s20, s36, s60                                // 0000000089F0: 85143C24
	v_readlane_b32 s82, v3, 7                                  // 0000000089F4: D2890052 00010F03
	s_and_b32 s82, s82, 0xffffff                               // 0000000089FC: 8652FF52 00FFFFFF
	s_cmp_lt_u32 s82, s66                                      // 000000008A04: BF0A4252
	s_cselect_b32 s21, s36, s60                                // 000000008A08: 85153C24
	s_mov_b64 exec, s[20:21]                                   // 000000008A0C: BEFE0114
	global_atomic_add_f32 v6, v79, s[8:9] offset:8             // 000000008A10: DD348008 00084F06
	global_atomic_add_f32 v6, v83, s[8:9] offset:264           // 000000008A18: DD348108 00085306
	global_atomic_add_f32 v6, v87, s[8:9] offset:520           // 000000008A20: DD348208 00085706
	global_atomic_add_f32 v6, v91, s[8:9] offset:776           // 000000008A28: DD348308 00085B06
	s_mov_b64 exec, s[36:37]                                   // 000000008A30: BEFE0124
	v_mov_b32_e32 v6, v50                                      // 000000008A34: 7E0C0332
	s_mov_b64 s[60:61], 0                                      // 000000008A38: BEBC0180
	v_readlane_b32 s82, v3, 8                                  // 000000008A3C: D2890052 00011103
	s_and_b32 s82, s82, 0xffffff                               // 000000008A44: 8652FF52 00FFFFFF
	s_cmp_lt_u32 s82, s66                                      // 000000008A4C: BF0A4252
	s_cselect_b32 s20, s36, s60                                // 000000008A50: 85143C24
	v_readlane_b32 s82, v3, 9                                  // 000000008A54: D2890052 00011303
	s_and_b32 s82, s82, 0xffffff                               // 000000008A5C: 8652FF52 00FFFFFF
	s_cmp_lt_u32 s82, s66                                      // 000000008A64: BF0A4252
	s_cselect_b32 s21, s36, s60                                // 000000008A68: 85153C24
	s_mov_b64 exec, s[20:21]                                   // 000000008A6C: BEFE0114
	global_atomic_add_f32 v6, v94, s[8:9] offset:8             // 000000008A70: DD348008 00085E06
	global_atomic_add_f32 v6, v98, s[8:9] offset:264           // 000000008A78: DD348108 00086206
	global_atomic_add_f32 v6, v102, s[8:9] offset:520          // 000000008A80: DD348208 00086606
	global_atomic_add_f32 v6, v106, s[8:9] offset:776          // 000000008A88: DD348308 00086A06
	s_mov_b64 exec, s[36:37]                                   // 000000008A90: BEFE0124
	v_mov_b32_e32 v6, v51                                      // 000000008A94: 7E0C0333
	s_mov_b64 s[60:61], 0                                      // 000000008A98: BEBC0180
	v_readlane_b32 s82, v3, 10                                 // 000000008A9C: D2890052 00011503
	s_and_b32 s82, s82, 0xffffff                               // 000000008AA4: 8652FF52 00FFFFFF
	s_cmp_lt_u32 s82, s66                                      // 000000008AAC: BF0A4252
	s_cselect_b32 s20, s36, s60                                // 000000008AB0: 85143C24
	v_readlane_b32 s82, v3, 11                                 // 000000008AB4: D2890052 00011703
	s_and_b32 s82, s82, 0xffffff                               // 000000008ABC: 8652FF52 00FFFFFF
	s_cmp_lt_u32 s82, s66                                      // 000000008AC4: BF0A4252
	s_cselect_b32 s21, s36, s60                                // 000000008AC8: 85153C24
	s_mov_b64 exec, s[20:21]                                   // 000000008ACC: BEFE0114
	global_atomic_add_f32 v6, v95, s[8:9] offset:8             // 000000008AD0: DD348008 00085F06
	global_atomic_add_f32 v6, v99, s[8:9] offset:264           // 000000008AD8: DD348108 00086306
	global_atomic_add_f32 v6, v103, s[8:9] offset:520          // 000000008AE0: DD348208 00086706
	global_atomic_add_f32 v6, v107, s[8:9] offset:776          // 000000008AE8: DD348308 00086B06
	s_mov_b64 exec, s[36:37]                                   // 000000008AF0: BEFE0124
	v_mov_b32_e32 v6, v52                                      // 000000008AF4: 7E0C0334
	s_mov_b64 s[60:61], 0                                      // 000000008AF8: BEBC0180
	v_readlane_b32 s82, v3, 12                                 // 000000008AFC: D2890052 00011903
	s_and_b32 s82, s82, 0xffffff                               // 000000008B04: 8652FF52 00FFFFFF
	s_cmp_lt_u32 s82, s66                                      // 000000008B0C: BF0A4252
	s_cselect_b32 s20, s36, s60                                // 000000008B10: 85143C24
	v_readlane_b32 s82, v3, 13                                 // 000000008B14: D2890052 00011B03
	s_and_b32 s82, s82, 0xffffff                               // 000000008B1C: 8652FF52 00FFFFFF
	s_cmp_lt_u32 s82, s66                                      // 000000008B24: BF0A4252
	s_cselect_b32 s21, s36, s60                                // 000000008B28: 85153C24
	s_mov_b64 exec, s[20:21]                                   // 000000008B2C: BEFE0114
	global_atomic_add_f32 v6, v110, s[8:9] offset:8            // 000000008B30: DD348008 00086E06
	global_atomic_add_f32 v6, v114, s[8:9] offset:264          // 000000008B38: DD348108 00087206
	global_atomic_add_f32 v6, v118, s[8:9] offset:520          // 000000008B40: DD348208 00087606
	global_atomic_add_f32 v6, v122, s[8:9] offset:776          // 000000008B48: DD348308 00087A06
	s_mov_b64 exec, s[36:37]                                   // 000000008B50: BEFE0124
	v_mov_b32_e32 v6, v53                                      // 000000008B54: 7E0C0335
	s_mov_b64 s[60:61], 0                                      // 000000008B58: BEBC0180
	v_readlane_b32 s82, v3, 14                                 // 000000008B5C: D2890052 00011D03
	s_and_b32 s82, s82, 0xffffff                               // 000000008B64: 8652FF52 00FFFFFF
	s_cmp_lt_u32 s82, s66                                      // 000000008B6C: BF0A4252
	s_cselect_b32 s20, s36, s60                                // 000000008B70: 85143C24
	v_readlane_b32 s82, v3, 15                                 // 000000008B74: D2890052 00011F03
	s_and_b32 s82, s82, 0xffffff                               // 000000008B7C: 8652FF52 00FFFFFF
	s_cmp_lt_u32 s82, s66                                      // 000000008B84: BF0A4252
	s_cselect_b32 s21, s36, s60                                // 000000008B88: 85153C24
	s_mov_b64 exec, s[20:21]                                   // 000000008B8C: BEFE0114
	global_atomic_add_f32 v6, v111, s[8:9] offset:8            // 000000008B90: DD348008 00086F06
	global_atomic_add_f32 v6, v115, s[8:9] offset:264          // 000000008B98: DD348108 00087306
	global_atomic_add_f32 v6, v119, s[8:9] offset:520          // 000000008BA0: DD348208 00087706
	global_atomic_add_f32 v6, v123, s[8:9] offset:776          // 000000008BA8: DD348308 00087B06
	s_mov_b64 exec, s[36:37]                                   // 000000008BB0: BEFE0124
	ds_write_b64 v20, v[124:125]                               // 000000008BB4: D89A0000 00007C14
	ds_write_b64 v20, v[128:129] offset:8704                   // 000000008BBC: D89A2200 00008014
	ds_write_b64 v20, v[132:133] offset:17408                  // 000000008BC4: D89A4400 00008414
	ds_write_b64 v20, v[136:137] offset:26112                  // 000000008BCC: D89A6600 00008814
	ds_write_b64 v20, v[140:141] offset:2176                   // 000000008BD4: D89A0880 00008C14
	ds_write_b64 v20, v[144:145] offset:10880                  // 000000008BDC: D89A2A80 00009014
	ds_write_b64 v20, v[148:149] offset:19584                  // 000000008BE4: D89A4C80 00009414
	ds_write_b64 v20, v[152:153] offset:28288                  // 000000008BEC: D89A6E80 00009814
	ds_write_b64 v20, v[156:157] offset:4352                   // 000000008BF4: D89A1100 00009C14
	ds_write_b64 v20, v[160:161] offset:13056                  // 000000008BFC: D89A3300 0000A014
	ds_write_b64 v20, v[164:165] offset:21760                  // 000000008C04: D89A5500 0000A414
	ds_write_b64 v20, v[168:169] offset:30464                  // 000000008C0C: D89A7700 0000A814
	ds_write_b64 v20, v[172:173] offset:6528                   // 000000008C14: D89A1980 0000AC14
	ds_write_b64 v20, v[176:177] offset:15232                  // 000000008C1C: D89A3B80 0000B014
	ds_write_b64 v20, v[180:181] offset:23936                  // 000000008C24: D89A5D80 0000B414
	ds_write_b64 v20, v[184:185] offset:32640                  // 000000008C2C: D89A7F80 0000B814
	s_waitcnt lgkmcnt(0)                                       // 000000008C34: BF8CC07F
	s_barrier                                                  // 000000008C38: BF8A0000
	ds_read_b32 v124, v21                                      // 000000008C3C: D86C0000 7C000015
	ds_read_b32 v125, v21 offset:64                            // 000000008C44: D86C0040 7D000015
	ds_read_b32 v128, v21 offset:2176                          // 000000008C4C: D86C0880 80000015
	ds_read_b32 v129, v21 offset:2240                          // 000000008C54: D86C08C0 81000015
	ds_read_b32 v132, v21 offset:4352                          // 000000008C5C: D86C1100 84000015
	ds_read_b32 v133, v21 offset:4416                          // 000000008C64: D86C1140 85000015
	ds_read_b32 v136, v21 offset:6528                          // 000000008C6C: D86C1980 88000015
	ds_read_b32 v137, v21 offset:6592                          // 000000008C74: D86C19C0 89000015
	ds_read_b32 v140, v21 offset:8704                          // 000000008C7C: D86C2200 8C000015
	ds_read_b32 v141, v21 offset:8768                          // 000000008C84: D86C2240 8D000015
	ds_read_b32 v144, v21 offset:10880                         // 000000008C8C: D86C2A80 90000015
	ds_read_b32 v145, v21 offset:10944                         // 000000008C94: D86C2AC0 91000015
	ds_read_b32 v148, v21 offset:13056                         // 000000008C9C: D86C3300 94000015
	ds_read_b32 v149, v21 offset:13120                         // 000000008CA4: D86C3340 95000015
	ds_read_b32 v152, v21 offset:15232                         // 000000008CAC: D86C3B80 98000015
	ds_read_b32 v153, v21 offset:15296                         // 000000008CB4: D86C3BC0 99000015
	ds_read_b32 v156, v21 offset:17408                         // 000000008CBC: D86C4400 9C000015
	ds_read_b32 v157, v21 offset:17472                         // 000000008CC4: D86C4440 9D000015
	ds_read_b32 v160, v21 offset:19584                         // 000000008CCC: D86C4C80 A0000015
	ds_read_b32 v161, v21 offset:19648                         // 000000008CD4: D86C4CC0 A1000015
	ds_read_b32 v164, v21 offset:21760                         // 000000008CDC: D86C5500 A4000015
	ds_read_b32 v165, v21 offset:21824                         // 000000008CE4: D86C5540 A5000015
	ds_read_b32 v168, v21 offset:23936                         // 000000008CEC: D86C5D80 A8000015
	ds_read_b32 v169, v21 offset:24000                         // 000000008CF4: D86C5DC0 A9000015
	ds_read_b32 v172, v21 offset:26112                         // 000000008CFC: D86C6600 AC000015
	ds_read_b32 v173, v21 offset:26176                         // 000000008D04: D86C6640 AD000015
	ds_read_b32 v176, v21 offset:28288                         // 000000008D0C: D86C6E80 B0000015
	ds_read_b32 v177, v21 offset:28352                         // 000000008D14: D86C6EC0 B1000015
	ds_read_b32 v180, v21 offset:30464                         // 000000008D1C: D86C7700 B4000015
	ds_read_b32 v181, v21 offset:30528                         // 000000008D24: D86C7740 B5000015
	ds_read_b32 v184, v21 offset:32640                         // 000000008D2C: D86C7F80 B8000015
	ds_read_b32 v185, v21 offset:32704                         // 000000008D34: D86C7FC0 B9000015
	s_mul_i32 s60, s65, 4                                      // 000000008D3C: 923C8441
	s_add_u32 s8, s60, s8                                      // 000000008D40: 8008083C
	s_addc_u32 s9, 0, s9                                       // 000000008D44: 82090980
	s_waitcnt lgkmcnt(0)                                       // 000000008D48: BF8CC07F
	v_mov_b32_e32 v7, 0                                        // 000000008D4C: 7E0E0280
	s_mov_b64 exec, s[36:37]                                   // 000000008D50: BEFE0124
	v_mov_b32_e32 v6, v46                                      // 000000008D54: 7E0C032E
	s_mov_b64 s[60:61], 0                                      // 000000008D58: BEBC0180
	v_readlane_b32 s82, v3, 0                                  // 000000008D5C: D2890052 00010103
	s_and_b32 s82, s82, 0xffffff                               // 000000008D64: 8652FF52 00FFFFFF
	s_cmp_lt_u32 s82, s66                                      // 000000008D6C: BF0A4252
	s_cselect_b32 s20, s36, s60                                // 000000008D70: 85143C24
	v_readlane_b32 s82, v3, 1                                  // 000000008D74: D2890052 00010303
	s_and_b32 s82, s82, 0xffffff                               // 000000008D7C: 8652FF52 00FFFFFF
	s_cmp_lt_u32 s82, s66                                      // 000000008D84: BF0A4252
	s_cselect_b32 s21, s36, s60                                // 000000008D88: 85153C24
	s_mov_b64 exec, s[20:21]                                   // 000000008D8C: BEFE0114
	global_atomic_add_f32 v6, v124, s[8:9]                     // 000000008D90: DD348000 00087C06
	global_atomic_add_f32 v6, v128, s[8:9] offset:256          // 000000008D98: DD348100 00088006
	global_atomic_add_f32 v6, v132, s[8:9] offset:512          // 000000008DA0: DD348200 00088406
	global_atomic_add_f32 v6, v136, s[8:9] offset:768          // 000000008DA8: DD348300 00088806
	s_mov_b64 exec, s[36:37]                                   // 000000008DB0: BEFE0124
	v_mov_b32_e32 v6, v47                                      // 000000008DB4: 7E0C032F
	s_mov_b64 s[60:61], 0                                      // 000000008DB8: BEBC0180
	v_readlane_b32 s82, v3, 2                                  // 000000008DBC: D2890052 00010503
	s_and_b32 s82, s82, 0xffffff                               // 000000008DC4: 8652FF52 00FFFFFF
	s_cmp_lt_u32 s82, s66                                      // 000000008DCC: BF0A4252
	s_cselect_b32 s20, s36, s60                                // 000000008DD0: 85143C24
	v_readlane_b32 s82, v3, 3                                  // 000000008DD4: D2890052 00010703
	s_and_b32 s82, s82, 0xffffff                               // 000000008DDC: 8652FF52 00FFFFFF
	s_cmp_lt_u32 s82, s66                                      // 000000008DE4: BF0A4252
	s_cselect_b32 s21, s36, s60                                // 000000008DE8: 85153C24
	s_mov_b64 exec, s[20:21]                                   // 000000008DEC: BEFE0114
	global_atomic_add_f32 v6, v125, s[8:9]                     // 000000008DF0: DD348000 00087D06
	global_atomic_add_f32 v6, v129, s[8:9] offset:256          // 000000008DF8: DD348100 00088106
	global_atomic_add_f32 v6, v133, s[8:9] offset:512          // 000000008E00: DD348200 00088506
	global_atomic_add_f32 v6, v137, s[8:9] offset:768          // 000000008E08: DD348300 00088906
	s_mov_b64 exec, s[36:37]                                   // 000000008E10: BEFE0124
	v_mov_b32_e32 v6, v48                                      // 000000008E14: 7E0C0330
	s_mov_b64 s[60:61], 0                                      // 000000008E18: BEBC0180
	v_readlane_b32 s82, v3, 4                                  // 000000008E1C: D2890052 00010903
	s_and_b32 s82, s82, 0xffffff                               // 000000008E24: 8652FF52 00FFFFFF
	s_cmp_lt_u32 s82, s66                                      // 000000008E2C: BF0A4252
	s_cselect_b32 s20, s36, s60                                // 000000008E30: 85143C24
	v_readlane_b32 s82, v3, 5                                  // 000000008E34: D2890052 00010B03
	s_and_b32 s82, s82, 0xffffff                               // 000000008E3C: 8652FF52 00FFFFFF
	s_cmp_lt_u32 s82, s66                                      // 000000008E44: BF0A4252
	s_cselect_b32 s21, s36, s60                                // 000000008E48: 85153C24
	s_mov_b64 exec, s[20:21]                                   // 000000008E4C: BEFE0114
	global_atomic_add_f32 v6, v140, s[8:9]                     // 000000008E50: DD348000 00088C06
	global_atomic_add_f32 v6, v144, s[8:9] offset:256          // 000000008E58: DD348100 00089006
	global_atomic_add_f32 v6, v148, s[8:9] offset:512          // 000000008E60: DD348200 00089406
	global_atomic_add_f32 v6, v152, s[8:9] offset:768          // 000000008E68: DD348300 00089806
	s_mov_b64 exec, s[36:37]                                   // 000000008E70: BEFE0124
	v_mov_b32_e32 v6, v49                                      // 000000008E74: 7E0C0331
	s_mov_b64 s[60:61], 0                                      // 000000008E78: BEBC0180
	v_readlane_b32 s82, v3, 6                                  // 000000008E7C: D2890052 00010D03
	s_and_b32 s82, s82, 0xffffff                               // 000000008E84: 8652FF52 00FFFFFF
	s_cmp_lt_u32 s82, s66                                      // 000000008E8C: BF0A4252
	s_cselect_b32 s20, s36, s60                                // 000000008E90: 85143C24
	v_readlane_b32 s82, v3, 7                                  // 000000008E94: D2890052 00010F03
	s_and_b32 s82, s82, 0xffffff                               // 000000008E9C: 8652FF52 00FFFFFF
	s_cmp_lt_u32 s82, s66                                      // 000000008EA4: BF0A4252
	s_cselect_b32 s21, s36, s60                                // 000000008EA8: 85153C24
	s_mov_b64 exec, s[20:21]                                   // 000000008EAC: BEFE0114
	global_atomic_add_f32 v6, v141, s[8:9]                     // 000000008EB0: DD348000 00088D06
	global_atomic_add_f32 v6, v145, s[8:9] offset:256          // 000000008EB8: DD348100 00089106
	global_atomic_add_f32 v6, v149, s[8:9] offset:512          // 000000008EC0: DD348200 00089506
	global_atomic_add_f32 v6, v153, s[8:9] offset:768          // 000000008EC8: DD348300 00089906
	s_mov_b64 exec, s[36:37]                                   // 000000008ED0: BEFE0124
	v_mov_b32_e32 v6, v50                                      // 000000008ED4: 7E0C0332
	s_mov_b64 s[60:61], 0                                      // 000000008ED8: BEBC0180
	v_readlane_b32 s82, v3, 8                                  // 000000008EDC: D2890052 00011103
	s_and_b32 s82, s82, 0xffffff                               // 000000008EE4: 8652FF52 00FFFFFF
	s_cmp_lt_u32 s82, s66                                      // 000000008EEC: BF0A4252
	s_cselect_b32 s20, s36, s60                                // 000000008EF0: 85143C24
	v_readlane_b32 s82, v3, 9                                  // 000000008EF4: D2890052 00011303
	s_and_b32 s82, s82, 0xffffff                               // 000000008EFC: 8652FF52 00FFFFFF
	s_cmp_lt_u32 s82, s66                                      // 000000008F04: BF0A4252
	s_cselect_b32 s21, s36, s60                                // 000000008F08: 85153C24
	s_mov_b64 exec, s[20:21]                                   // 000000008F0C: BEFE0114
	global_atomic_add_f32 v6, v156, s[8:9]                     // 000000008F10: DD348000 00089C06
	global_atomic_add_f32 v6, v160, s[8:9] offset:256          // 000000008F18: DD348100 0008A006
	global_atomic_add_f32 v6, v164, s[8:9] offset:512          // 000000008F20: DD348200 0008A406
	global_atomic_add_f32 v6, v168, s[8:9] offset:768          // 000000008F28: DD348300 0008A806
	s_mov_b64 exec, s[36:37]                                   // 000000008F30: BEFE0124
	v_mov_b32_e32 v6, v51                                      // 000000008F34: 7E0C0333
	s_mov_b64 s[60:61], 0                                      // 000000008F38: BEBC0180
	v_readlane_b32 s82, v3, 10                                 // 000000008F3C: D2890052 00011503
	s_and_b32 s82, s82, 0xffffff                               // 000000008F44: 8652FF52 00FFFFFF
	s_cmp_lt_u32 s82, s66                                      // 000000008F4C: BF0A4252
	s_cselect_b32 s20, s36, s60                                // 000000008F50: 85143C24
	v_readlane_b32 s82, v3, 11                                 // 000000008F54: D2890052 00011703
	s_and_b32 s82, s82, 0xffffff                               // 000000008F5C: 8652FF52 00FFFFFF
	s_cmp_lt_u32 s82, s66                                      // 000000008F64: BF0A4252
	s_cselect_b32 s21, s36, s60                                // 000000008F68: 85153C24
	s_mov_b64 exec, s[20:21]                                   // 000000008F6C: BEFE0114
	global_atomic_add_f32 v6, v157, s[8:9]                     // 000000008F70: DD348000 00089D06
	global_atomic_add_f32 v6, v161, s[8:9] offset:256          // 000000008F78: DD348100 0008A106
	global_atomic_add_f32 v6, v165, s[8:9] offset:512          // 000000008F80: DD348200 0008A506
	global_atomic_add_f32 v6, v169, s[8:9] offset:768          // 000000008F88: DD348300 0008A906
	s_mov_b64 exec, s[36:37]                                   // 000000008F90: BEFE0124
	v_mov_b32_e32 v6, v52                                      // 000000008F94: 7E0C0334
	s_mov_b64 s[60:61], 0                                      // 000000008F98: BEBC0180
	v_readlane_b32 s82, v3, 12                                 // 000000008F9C: D2890052 00011903
	s_and_b32 s82, s82, 0xffffff                               // 000000008FA4: 8652FF52 00FFFFFF
	s_cmp_lt_u32 s82, s66                                      // 000000008FAC: BF0A4252
	s_cselect_b32 s20, s36, s60                                // 000000008FB0: 85143C24
	v_readlane_b32 s82, v3, 13                                 // 000000008FB4: D2890052 00011B03
	s_and_b32 s82, s82, 0xffffff                               // 000000008FBC: 8652FF52 00FFFFFF
	s_cmp_lt_u32 s82, s66                                      // 000000008FC4: BF0A4252
	s_cselect_b32 s21, s36, s60                                // 000000008FC8: 85153C24
	s_mov_b64 exec, s[20:21]                                   // 000000008FCC: BEFE0114
	global_atomic_add_f32 v6, v172, s[8:9]                     // 000000008FD0: DD348000 0008AC06
	global_atomic_add_f32 v6, v176, s[8:9] offset:256          // 000000008FD8: DD348100 0008B006
	global_atomic_add_f32 v6, v180, s[8:9] offset:512          // 000000008FE0: DD348200 0008B406
	global_atomic_add_f32 v6, v184, s[8:9] offset:768          // 000000008FE8: DD348300 0008B806
	s_mov_b64 exec, s[36:37]                                   // 000000008FF0: BEFE0124
	v_mov_b32_e32 v6, v53                                      // 000000008FF4: 7E0C0335
	s_mov_b64 s[60:61], 0                                      // 000000008FF8: BEBC0180
	v_readlane_b32 s82, v3, 14                                 // 000000008FFC: D2890052 00011D03
	s_and_b32 s82, s82, 0xffffff                               // 000000009004: 8652FF52 00FFFFFF
	s_cmp_lt_u32 s82, s66                                      // 00000000900C: BF0A4252
	s_cselect_b32 s20, s36, s60                                // 000000009010: 85143C24
	v_readlane_b32 s82, v3, 15                                 // 000000009014: D2890052 00011F03
	s_and_b32 s82, s82, 0xffffff                               // 00000000901C: 8652FF52 00FFFFFF
	s_cmp_lt_u32 s82, s66                                      // 000000009024: BF0A4252
	s_cselect_b32 s21, s36, s60                                // 000000009028: 85153C24
	s_mov_b64 exec, s[20:21]                                   // 00000000902C: BEFE0114
	global_atomic_add_f32 v6, v173, s[8:9]                     // 000000009030: DD348000 0008AD06
	global_atomic_add_f32 v6, v177, s[8:9] offset:256          // 000000009038: DD348100 0008B106
	global_atomic_add_f32 v6, v181, s[8:9] offset:512          // 000000009040: DD348200 0008B506
	global_atomic_add_f32 v6, v185, s[8:9] offset:768          // 000000009048: DD348300 0008B906
	s_mov_b64 exec, s[36:37]                                   // 000000009050: BEFE0124
	ds_write_b64 v20, v[126:127]                               // 000000009054: D89A0000 00007E14
	ds_write_b64 v20, v[130:131] offset:8704                   // 00000000905C: D89A2200 00008214
	ds_write_b64 v20, v[134:135] offset:17408                  // 000000009064: D89A4400 00008614
	ds_write_b64 v20, v[138:139] offset:26112                  // 00000000906C: D89A6600 00008A14
	ds_write_b64 v20, v[142:143] offset:2176                   // 000000009074: D89A0880 00008E14
	ds_write_b64 v20, v[146:147] offset:10880                  // 00000000907C: D89A2A80 00009214
	ds_write_b64 v20, v[150:151] offset:19584                  // 000000009084: D89A4C80 00009614
	ds_write_b64 v20, v[154:155] offset:28288                  // 00000000908C: D89A6E80 00009A14
	ds_write_b64 v20, v[158:159] offset:4352                   // 000000009094: D89A1100 00009E14
	ds_write_b64 v20, v[162:163] offset:13056                  // 00000000909C: D89A3300 0000A214
	ds_write_b64 v20, v[166:167] offset:21760                  // 0000000090A4: D89A5500 0000A614
	ds_write_b64 v20, v[170:171] offset:30464                  // 0000000090AC: D89A7700 0000AA14
	ds_write_b64 v20, v[174:175] offset:6528                   // 0000000090B4: D89A1980 0000AE14
	ds_write_b64 v20, v[178:179] offset:15232                  // 0000000090BC: D89A3B80 0000B214
	ds_write_b64 v20, v[182:183] offset:23936                  // 0000000090C4: D89A5D80 0000B614
	ds_write_b64 v20, v[186:187] offset:32640                  // 0000000090CC: D89A7F80 0000BA14
	s_waitcnt lgkmcnt(0)                                       // 0000000090D4: BF8CC07F
	s_barrier                                                  // 0000000090D8: BF8A0000
	ds_read_b32 v126, v21                                      // 0000000090DC: D86C0000 7E000015
	ds_read_b32 v127, v21 offset:64                            // 0000000090E4: D86C0040 7F000015
	ds_read_b32 v130, v21 offset:2176                          // 0000000090EC: D86C0880 82000015
	ds_read_b32 v131, v21 offset:2240                          // 0000000090F4: D86C08C0 83000015
	ds_read_b32 v134, v21 offset:4352                          // 0000000090FC: D86C1100 86000015
	ds_read_b32 v135, v21 offset:4416                          // 000000009104: D86C1140 87000015
	ds_read_b32 v138, v21 offset:6528                          // 00000000910C: D86C1980 8A000015
	ds_read_b32 v139, v21 offset:6592                          // 000000009114: D86C19C0 8B000015
	ds_read_b32 v142, v21 offset:8704                          // 00000000911C: D86C2200 8E000015
	ds_read_b32 v143, v21 offset:8768                          // 000000009124: D86C2240 8F000015
	ds_read_b32 v146, v21 offset:10880                         // 00000000912C: D86C2A80 92000015
	ds_read_b32 v147, v21 offset:10944                         // 000000009134: D86C2AC0 93000015
	ds_read_b32 v150, v21 offset:13056                         // 00000000913C: D86C3300 96000015
	ds_read_b32 v151, v21 offset:13120                         // 000000009144: D86C3340 97000015
	ds_read_b32 v154, v21 offset:15232                         // 00000000914C: D86C3B80 9A000015
	ds_read_b32 v155, v21 offset:15296                         // 000000009154: D86C3BC0 9B000015
	ds_read_b32 v158, v21 offset:17408                         // 00000000915C: D86C4400 9E000015
	ds_read_b32 v159, v21 offset:17472                         // 000000009164: D86C4440 9F000015
	ds_read_b32 v162, v21 offset:19584                         // 00000000916C: D86C4C80 A2000015
	ds_read_b32 v163, v21 offset:19648                         // 000000009174: D86C4CC0 A3000015
	ds_read_b32 v166, v21 offset:21760                         // 00000000917C: D86C5500 A6000015
	ds_read_b32 v167, v21 offset:21824                         // 000000009184: D86C5540 A7000015
	ds_read_b32 v170, v21 offset:23936                         // 00000000918C: D86C5D80 AA000015
	ds_read_b32 v171, v21 offset:24000                         // 000000009194: D86C5DC0 AB000015
	ds_read_b32 v174, v21 offset:26112                         // 00000000919C: D86C6600 AE000015
	ds_read_b32 v175, v21 offset:26176                         // 0000000091A4: D86C6640 AF000015
	ds_read_b32 v178, v21 offset:28288                         // 0000000091AC: D86C6E80 B2000015
	ds_read_b32 v179, v21 offset:28352                         // 0000000091B4: D86C6EC0 B3000015
	ds_read_b32 v182, v21 offset:30464                         // 0000000091BC: D86C7700 B6000015
	ds_read_b32 v183, v21 offset:30528                         // 0000000091C4: D86C7740 B7000015
	ds_read_b32 v186, v21 offset:32640                         // 0000000091CC: D86C7F80 BA000015
	ds_read_b32 v187, v21 offset:32704                         // 0000000091D4: D86C7FC0 BB000015
	s_waitcnt lgkmcnt(0)                                       // 0000000091DC: BF8CC07F
	v_mov_b32_e32 v7, 0                                        // 0000000091E0: 7E0E0280
	s_mov_b64 exec, s[36:37]                                   // 0000000091E4: BEFE0124
	v_mov_b32_e32 v6, v46                                      // 0000000091E8: 7E0C032E
	s_mov_b64 s[60:61], 0                                      // 0000000091EC: BEBC0180
	v_readlane_b32 s82, v3, 0                                  // 0000000091F0: D2890052 00010103
	s_and_b32 s82, s82, 0xffffff                               // 0000000091F8: 8652FF52 00FFFFFF
	s_cmp_lt_u32 s82, s66                                      // 000000009200: BF0A4252
	s_cselect_b32 s20, s36, s60                                // 000000009204: 85143C24
	v_readlane_b32 s82, v3, 1                                  // 000000009208: D2890052 00010303
	s_and_b32 s82, s82, 0xffffff                               // 000000009210: 8652FF52 00FFFFFF
	s_cmp_lt_u32 s82, s66                                      // 000000009218: BF0A4252
	s_cselect_b32 s21, s36, s60                                // 00000000921C: 85153C24
	s_mov_b64 exec, s[20:21]                                   // 000000009220: BEFE0114
	global_atomic_add_f32 v6, v126, s[8:9] offset:8            // 000000009224: DD348008 00087E06
	global_atomic_add_f32 v6, v130, s[8:9] offset:264          // 00000000922C: DD348108 00088206
	global_atomic_add_f32 v6, v134, s[8:9] offset:520          // 000000009234: DD348208 00088606
	global_atomic_add_f32 v6, v138, s[8:9] offset:776          // 00000000923C: DD348308 00088A06
	s_mov_b64 exec, s[36:37]                                   // 000000009244: BEFE0124
	v_mov_b32_e32 v6, v47                                      // 000000009248: 7E0C032F
	s_mov_b64 s[60:61], 0                                      // 00000000924C: BEBC0180
	v_readlane_b32 s82, v3, 2                                  // 000000009250: D2890052 00010503
	s_and_b32 s82, s82, 0xffffff                               // 000000009258: 8652FF52 00FFFFFF
	s_cmp_lt_u32 s82, s66                                      // 000000009260: BF0A4252
	s_cselect_b32 s20, s36, s60                                // 000000009264: 85143C24
	v_readlane_b32 s82, v3, 3                                  // 000000009268: D2890052 00010703
	s_and_b32 s82, s82, 0xffffff                               // 000000009270: 8652FF52 00FFFFFF
	s_cmp_lt_u32 s82, s66                                      // 000000009278: BF0A4252
	s_cselect_b32 s21, s36, s60                                // 00000000927C: 85153C24
	s_mov_b64 exec, s[20:21]                                   // 000000009280: BEFE0114
	global_atomic_add_f32 v6, v127, s[8:9] offset:8            // 000000009284: DD348008 00087F06
	global_atomic_add_f32 v6, v131, s[8:9] offset:264          // 00000000928C: DD348108 00088306
	global_atomic_add_f32 v6, v135, s[8:9] offset:520          // 000000009294: DD348208 00088706
	global_atomic_add_f32 v6, v139, s[8:9] offset:776          // 00000000929C: DD348308 00088B06
	s_mov_b64 exec, s[36:37]                                   // 0000000092A4: BEFE0124
	v_mov_b32_e32 v6, v48                                      // 0000000092A8: 7E0C0330
	s_mov_b64 s[60:61], 0                                      // 0000000092AC: BEBC0180
	v_readlane_b32 s82, v3, 4                                  // 0000000092B0: D2890052 00010903
	s_and_b32 s82, s82, 0xffffff                               // 0000000092B8: 8652FF52 00FFFFFF
	s_cmp_lt_u32 s82, s66                                      // 0000000092C0: BF0A4252
	s_cselect_b32 s20, s36, s60                                // 0000000092C4: 85143C24
	v_readlane_b32 s82, v3, 5                                  // 0000000092C8: D2890052 00010B03
	s_and_b32 s82, s82, 0xffffff                               // 0000000092D0: 8652FF52 00FFFFFF
	s_cmp_lt_u32 s82, s66                                      // 0000000092D8: BF0A4252
	s_cselect_b32 s21, s36, s60                                // 0000000092DC: 85153C24
	s_mov_b64 exec, s[20:21]                                   // 0000000092E0: BEFE0114
	global_atomic_add_f32 v6, v142, s[8:9] offset:8            // 0000000092E4: DD348008 00088E06
	global_atomic_add_f32 v6, v146, s[8:9] offset:264          // 0000000092EC: DD348108 00089206
	global_atomic_add_f32 v6, v150, s[8:9] offset:520          // 0000000092F4: DD348208 00089606
	global_atomic_add_f32 v6, v154, s[8:9] offset:776          // 0000000092FC: DD348308 00089A06
	s_mov_b64 exec, s[36:37]                                   // 000000009304: BEFE0124
	v_mov_b32_e32 v6, v49                                      // 000000009308: 7E0C0331
	s_mov_b64 s[60:61], 0                                      // 00000000930C: BEBC0180
	v_readlane_b32 s82, v3, 6                                  // 000000009310: D2890052 00010D03
	s_and_b32 s82, s82, 0xffffff                               // 000000009318: 8652FF52 00FFFFFF
	s_cmp_lt_u32 s82, s66                                      // 000000009320: BF0A4252
	s_cselect_b32 s20, s36, s60                                // 000000009324: 85143C24
	v_readlane_b32 s82, v3, 7                                  // 000000009328: D2890052 00010F03
	s_and_b32 s82, s82, 0xffffff                               // 000000009330: 8652FF52 00FFFFFF
	s_cmp_lt_u32 s82, s66                                      // 000000009338: BF0A4252
	s_cselect_b32 s21, s36, s60                                // 00000000933C: 85153C24
	s_mov_b64 exec, s[20:21]                                   // 000000009340: BEFE0114
	global_atomic_add_f32 v6, v143, s[8:9] offset:8            // 000000009344: DD348008 00088F06
	global_atomic_add_f32 v6, v147, s[8:9] offset:264          // 00000000934C: DD348108 00089306
	global_atomic_add_f32 v6, v151, s[8:9] offset:520          // 000000009354: DD348208 00089706
	global_atomic_add_f32 v6, v155, s[8:9] offset:776          // 00000000935C: DD348308 00089B06
	s_mov_b64 exec, s[36:37]                                   // 000000009364: BEFE0124
	v_mov_b32_e32 v6, v50                                      // 000000009368: 7E0C0332
	s_mov_b64 s[60:61], 0                                      // 00000000936C: BEBC0180
	v_readlane_b32 s82, v3, 8                                  // 000000009370: D2890052 00011103
	s_and_b32 s82, s82, 0xffffff                               // 000000009378: 8652FF52 00FFFFFF
	s_cmp_lt_u32 s82, s66                                      // 000000009380: BF0A4252
	s_cselect_b32 s20, s36, s60                                // 000000009384: 85143C24
	v_readlane_b32 s82, v3, 9                                  // 000000009388: D2890052 00011303
	s_and_b32 s82, s82, 0xffffff                               // 000000009390: 8652FF52 00FFFFFF
	s_cmp_lt_u32 s82, s66                                      // 000000009398: BF0A4252
	s_cselect_b32 s21, s36, s60                                // 00000000939C: 85153C24
	s_mov_b64 exec, s[20:21]                                   // 0000000093A0: BEFE0114
	global_atomic_add_f32 v6, v158, s[8:9] offset:8            // 0000000093A4: DD348008 00089E06
	global_atomic_add_f32 v6, v162, s[8:9] offset:264          // 0000000093AC: DD348108 0008A206
	global_atomic_add_f32 v6, v166, s[8:9] offset:520          // 0000000093B4: DD348208 0008A606
	global_atomic_add_f32 v6, v170, s[8:9] offset:776          // 0000000093BC: DD348308 0008AA06
	s_mov_b64 exec, s[36:37]                                   // 0000000093C4: BEFE0124
	v_mov_b32_e32 v6, v51                                      // 0000000093C8: 7E0C0333
	s_mov_b64 s[60:61], 0                                      // 0000000093CC: BEBC0180
	v_readlane_b32 s82, v3, 10                                 // 0000000093D0: D2890052 00011503
	s_and_b32 s82, s82, 0xffffff                               // 0000000093D8: 8652FF52 00FFFFFF
	s_cmp_lt_u32 s82, s66                                      // 0000000093E0: BF0A4252
	s_cselect_b32 s20, s36, s60                                // 0000000093E4: 85143C24
	v_readlane_b32 s82, v3, 11                                 // 0000000093E8: D2890052 00011703
	s_and_b32 s82, s82, 0xffffff                               // 0000000093F0: 8652FF52 00FFFFFF
	s_cmp_lt_u32 s82, s66                                      // 0000000093F8: BF0A4252
	s_cselect_b32 s21, s36, s60                                // 0000000093FC: 85153C24
	s_mov_b64 exec, s[20:21]                                   // 000000009400: BEFE0114
	global_atomic_add_f32 v6, v159, s[8:9] offset:8            // 000000009404: DD348008 00089F06
	global_atomic_add_f32 v6, v163, s[8:9] offset:264          // 00000000940C: DD348108 0008A306
	global_atomic_add_f32 v6, v167, s[8:9] offset:520          // 000000009414: DD348208 0008A706
	global_atomic_add_f32 v6, v171, s[8:9] offset:776          // 00000000941C: DD348308 0008AB06
	s_mov_b64 exec, s[36:37]                                   // 000000009424: BEFE0124
	v_mov_b32_e32 v6, v52                                      // 000000009428: 7E0C0334
	s_mov_b64 s[60:61], 0                                      // 00000000942C: BEBC0180
	v_readlane_b32 s82, v3, 12                                 // 000000009430: D2890052 00011903
	s_and_b32 s82, s82, 0xffffff                               // 000000009438: 8652FF52 00FFFFFF
	s_cmp_lt_u32 s82, s66                                      // 000000009440: BF0A4252
	s_cselect_b32 s20, s36, s60                                // 000000009444: 85143C24
	v_readlane_b32 s82, v3, 13                                 // 000000009448: D2890052 00011B03
	s_and_b32 s82, s82, 0xffffff                               // 000000009450: 8652FF52 00FFFFFF
	s_cmp_lt_u32 s82, s66                                      // 000000009458: BF0A4252
	s_cselect_b32 s21, s36, s60                                // 00000000945C: 85153C24
	s_mov_b64 exec, s[20:21]                                   // 000000009460: BEFE0114
	global_atomic_add_f32 v6, v174, s[8:9] offset:8            // 000000009464: DD348008 0008AE06
	global_atomic_add_f32 v6, v178, s[8:9] offset:264          // 00000000946C: DD348108 0008B206
	global_atomic_add_f32 v6, v182, s[8:9] offset:520          // 000000009474: DD348208 0008B606
	global_atomic_add_f32 v6, v186, s[8:9] offset:776          // 00000000947C: DD348308 0008BA06
	s_mov_b64 exec, s[36:37]                                   // 000000009484: BEFE0124
	v_mov_b32_e32 v6, v53                                      // 000000009488: 7E0C0335
	s_mov_b64 s[60:61], 0                                      // 00000000948C: BEBC0180
	v_readlane_b32 s82, v3, 14                                 // 000000009490: D2890052 00011D03
	s_and_b32 s82, s82, 0xffffff                               // 000000009498: 8652FF52 00FFFFFF
	s_cmp_lt_u32 s82, s66                                      // 0000000094A0: BF0A4252
	s_cselect_b32 s20, s36, s60                                // 0000000094A4: 85143C24
	v_readlane_b32 s82, v3, 15                                 // 0000000094A8: D2890052 00011F03
	s_and_b32 s82, s82, 0xffffff                               // 0000000094B0: 8652FF52 00FFFFFF
	s_cmp_lt_u32 s82, s66                                      // 0000000094B8: BF0A4252
	s_cselect_b32 s21, s36, s60                                // 0000000094BC: 85153C24
	s_mov_b64 exec, s[20:21]                                   // 0000000094C0: BEFE0114
	global_atomic_add_f32 v6, v175, s[8:9] offset:8            // 0000000094C4: DD348008 0008AF06
	global_atomic_add_f32 v6, v179, s[8:9] offset:264          // 0000000094CC: DD348108 0008B306
	global_atomic_add_f32 v6, v183, s[8:9] offset:520          // 0000000094D4: DD348208 0008B706
	global_atomic_add_f32 v6, v187, s[8:9] offset:776          // 0000000094DC: DD348308 0008BB06
	s_mov_b64 exec, s[36:37]                                   // 0000000094E4: BEFE0124
	s_branch label_32BE                                        // 0000000094E8: BF821800

00000000000094ec <label_1ABE>:
	s_waitcnt vmcnt(16) lgkmcnt(0)                             // 0000000094EC: BF8C4070
	v_mfma_i32_16x16x32_i8 v[60:63], a[64:65], a[0:1], v[60:63]// 0000000094F0: D3D7003C 1CF20140
	buffer_load_dwordx4 a[128:131], v54, s[24:27], 0 offen     // 0000000094F8: E05C1000 80868036
	v_mfma_i32_16x16x32_i8 v[60:63], a[66:67], a[2:3], v[60:63]// 000000009500: D3D7003C 1CF20542
	v_mfma_i32_16x16x32_i8 v[60:63], a[68:69], a[4:5], v[60:63]// 000000009508: D3D7003C 1CF20944
	v_mfma_i32_16x16x32_i8 v[60:63], a[70:71], a[6:7], v[60:63]// 000000009510: D3D7003C 1CF20D46
	v_mfma_i32_16x16x32_i8 v[76:79], a[72:73], a[0:1], v[76:79]// 000000009518: D3D7004C 1D320148
	buffer_load_dwordx4 a[132:135], v54, s[24:27], 0 offen offset:1024// 000000009520: E05C1400 80868436
	v_mfma_i32_16x16x32_i8 v[76:79], a[74:75], a[2:3], v[76:79]// 000000009528: D3D7004C 1D32054A
	v_mfma_i32_16x16x32_i8 v[76:79], a[76:77], a[4:5], v[76:79]// 000000009530: D3D7004C 1D32094C
	v_mfma_i32_16x16x32_i8 v[76:79], a[78:79], a[6:7], v[76:79]// 000000009538: D3D7004C 1D320D4E
	v_mfma_i32_16x16x32_i8 v[92:95], a[80:81], a[0:1], v[92:95]// 000000009540: D3D7005C 1D720150
	buffer_load_dwordx4 a[136:139], v55, s[24:27], 0 offen     // 000000009548: E05C1000 80868837
	v_mfma_i32_16x16x32_i8 v[92:95], a[82:83], a[2:3], v[92:95]// 000000009550: D3D7005C 1D720552
	v_mfma_i32_16x16x32_i8 v[92:95], a[84:85], a[4:5], v[92:95]// 000000009558: D3D7005C 1D720954
	v_mfma_i32_16x16x32_i8 v[92:95], a[86:87], a[6:7], v[92:95]// 000000009560: D3D7005C 1D720D56
	v_mfma_i32_16x16x32_i8 v[108:111], a[88:89], a[0:1], v[108:111]// 000000009568: D3D7006C 1DB20158
	buffer_load_dwordx4 a[140:143], v55, s[24:27], 0 offen offset:1024// 000000009570: E05C1400 80868C37
	v_mfma_i32_16x16x32_i8 v[108:111], a[90:91], a[2:3], v[108:111]// 000000009578: D3D7006C 1DB2055A
	v_mfma_i32_16x16x32_i8 v[108:111], a[92:93], a[4:5], v[108:111]// 000000009580: D3D7006C 1DB2095C
	v_mfma_i32_16x16x32_i8 v[108:111], a[94:95], a[6:7], v[108:111]// 000000009588: D3D7006C 1DB20D5E
	v_mfma_i32_16x16x32_i8 v[64:67], a[64:65], a[8:9], v[64:67]// 000000009590: D3D70040 1D021140
	buffer_load_dwordx4 a[144:147], v56, s[24:27], 0 offen     // 000000009598: E05C1000 80869038
	v_mfma_i32_16x16x32_i8 v[64:67], a[66:67], a[10:11], v[64:67]// 0000000095A0: D3D70040 1D021542
	v_mfma_i32_16x16x32_i8 v[64:67], a[68:69], a[12:13], v[64:67]// 0000000095A8: D3D70040 1D021944
	v_mfma_i32_16x16x32_i8 v[64:67], a[70:71], a[14:15], v[64:67]// 0000000095B0: D3D70040 1D021D46
	v_mfma_i32_16x16x32_i8 v[80:83], a[72:73], a[8:9], v[80:83]// 0000000095B8: D3D70050 1D421148
	buffer_load_dwordx4 a[148:151], v56, s[24:27], 0 offen offset:1024// 0000000095C0: E05C1400 80869438
	v_mfma_i32_16x16x32_i8 v[80:83], a[74:75], a[10:11], v[80:83]// 0000000095C8: D3D70050 1D42154A
	v_mfma_i32_16x16x32_i8 v[80:83], a[76:77], a[12:13], v[80:83]// 0000000095D0: D3D70050 1D42194C
	v_mfma_i32_16x16x32_i8 v[80:83], a[78:79], a[14:15], v[80:83]// 0000000095D8: D3D70050 1D421D4E
	v_mfma_i32_16x16x32_i8 v[96:99], a[80:81], a[8:9], v[96:99]// 0000000095E0: D3D70060 1D821150
	buffer_load_dwordx4 a[152:155], v57, s[24:27], 0 offen     // 0000000095E8: E05C1000 80869839
	v_mfma_i32_16x16x32_i8 v[96:99], a[82:83], a[10:11], v[96:99]// 0000000095F0: D3D70060 1D821552
	v_mfma_i32_16x16x32_i8 v[96:99], a[84:85], a[12:13], v[96:99]// 0000000095F8: D3D70060 1D821954
	v_mfma_i32_16x16x32_i8 v[96:99], a[86:87], a[14:15], v[96:99]// 000000009600: D3D70060 1D821D56
	v_mfma_i32_16x16x32_i8 v[112:115], a[88:89], a[8:9], v[112:115]// 000000009608: D3D70070 1DC21158
	buffer_load_dwordx4 a[156:159], v57, s[24:27], 0 offen offset:1024// 000000009610: E05C1400 80869C39
	buffer_load_dword v46, s[20:23], 0 offen lds               // 000000009618: E0511000 8005002E
	s_add_u32 m0, 0x100, s50                                   // 000000009620: 807C32FF 00000100
	v_mfma_i32_16x16x32_i8 v[112:115], a[90:91], a[10:11], v[112:115]// 000000009628: D3D70070 1DC2155A
	v_mfma_i32_16x16x32_i8 v[112:115], a[92:93], a[12:13], v[112:115]// 000000009630: D3D70070 1DC2195C
	buffer_load_dword v47, s[20:23], 0 offen lds               // 000000009638: E0511000 8005002F
	s_add_u32 m0, 0x200, s50                                   // 000000009640: 807C32FF 00000200
	v_mfma_i32_16x16x32_i8 v[112:115], a[94:95], a[14:15], v[112:115]// 000000009648: D3D70070 1DC21D5E
	v_mfma_i32_16x16x32_i8 v[68:71], a[64:65], a[16:17], v[68:71]// 000000009650: D3D70044 1D122140
	buffer_load_dword v48, s[20:23], 0 offen lds               // 000000009658: E0511000 80050030
	s_add_u32 m0, 0x300, s50                                   // 000000009660: 807C32FF 00000300
	v_mfma_i32_16x16x32_i8 v[68:71], a[66:67], a[18:19], v[68:71]// 000000009668: D3D70044 1D122542
	v_mfma_i32_16x16x32_i8 v[68:71], a[68:69], a[20:21], v[68:71]// 000000009670: D3D70044 1D122944
	buffer_load_dword v49, s[20:23], 0 offen lds               // 000000009678: E0511000 80050031
	s_add_u32 m0, 0x400, s50                                   // 000000009680: 807C32FF 00000400
	v_mfma_i32_16x16x32_i8 v[68:71], a[70:71], a[22:23], v[68:71]// 000000009688: D3D70044 1D122D46
	v_mfma_i32_16x16x32_i8 v[84:87], a[72:73], a[16:17], v[84:87]// 000000009690: D3D70054 1D522148
	buffer_load_dword v50, s[20:23], 0 offen lds               // 000000009698: E0511000 80050032
	s_add_u32 m0, 0x500, s50                                   // 0000000096A0: 807C32FF 00000500
	v_mfma_i32_16x16x32_i8 v[84:87], a[74:75], a[18:19], v[84:87]// 0000000096A8: D3D70054 1D52254A
	v_mfma_i32_16x16x32_i8 v[84:87], a[76:77], a[20:21], v[84:87]// 0000000096B0: D3D70054 1D52294C
	buffer_load_dword v51, s[20:23], 0 offen lds               // 0000000096B8: E0511000 80050033
	s_add_u32 m0, 0x600, s50                                   // 0000000096C0: 807C32FF 00000600
	v_mfma_i32_16x16x32_i8 v[84:87], a[78:79], a[22:23], v[84:87]// 0000000096C8: D3D70054 1D522D4E
	v_mfma_i32_16x16x32_i8 v[100:103], a[80:81], a[16:17], v[100:103]// 0000000096D0: D3D70064 1D922150
	buffer_load_dword v52, s[20:23], 0 offen lds               // 0000000096D8: E0511000 80050034
	s_add_u32 m0, 0x700, s50                                   // 0000000096E0: 807C32FF 00000700
	v_mfma_i32_16x16x32_i8 v[100:103], a[82:83], a[18:19], v[100:103]// 0000000096E8: D3D70064 1D922552
	v_mfma_i32_16x16x32_i8 v[100:103], a[84:85], a[20:21], v[100:103]// 0000000096F0: D3D70064 1D922954
	buffer_load_dword v53, s[20:23], 0 offen lds               // 0000000096F8: E0511000 80050035
	s_add_u32 m0, 0, s48                                       // 000000009700: 807C3080
	v_mfma_i32_16x16x32_i8 v[100:103], a[86:87], a[22:23], v[100:103]// 000000009704: D3D70064 1D922D56
	v_mfma_i32_16x16x32_i8 v[116:119], a[88:89], a[16:17], v[116:119]// 00000000970C: D3D70074 1DD22158
	v_mfma_i32_16x16x32_i8 v[116:119], a[90:91], a[18:19], v[116:119]// 000000009714: D3D70074 1DD2255A
	v_mfma_i32_16x16x32_i8 v[116:119], a[92:93], a[20:21], v[116:119]// 00000000971C: D3D70074 1DD2295C
	v_mfma_i32_16x16x32_i8 v[116:119], a[94:95], a[22:23], v[116:119]// 000000009724: D3D70074 1DD22D5E
	v_mfma_i32_16x16x32_i8 v[72:75], a[64:65], a[24:25], v[72:75]// 00000000972C: D3D70048 1D223140
	v_mfma_i32_16x16x32_i8 v[72:75], a[66:67], a[26:27], v[72:75]// 000000009734: D3D70048 1D223542
	v_mfma_i32_16x16x32_i8 v[72:75], a[68:69], a[28:29], v[72:75]// 00000000973C: D3D70048 1D223944
	v_mfma_i32_16x16x32_i8 v[72:75], a[70:71], a[30:31], v[72:75]// 000000009744: D3D70048 1D223D46
	v_mfma_i32_16x16x32_i8 v[88:91], a[72:73], a[24:25], v[88:91]// 00000000974C: D3D70058 1D623148
	v_mfma_i32_16x16x32_i8 v[88:91], a[74:75], a[26:27], v[88:91]// 000000009754: D3D70058 1D62354A
	v_mfma_i32_16x16x32_i8 v[88:91], a[76:77], a[28:29], v[88:91]// 00000000975C: D3D70058 1D62394C
	v_mfma_i32_16x16x32_i8 v[88:91], a[78:79], a[30:31], v[88:91]// 000000009764: D3D70058 1D623D4E
	v_mfma_i32_16x16x32_i8 v[104:107], a[80:81], a[24:25], v[104:107]// 00000000976C: D3D70068 1DA23150
	v_mfma_i32_16x16x32_i8 v[104:107], a[82:83], a[26:27], v[104:107]// 000000009774: D3D70068 1DA23552
	v_mfma_i32_16x16x32_i8 v[104:107], a[84:85], a[28:29], v[104:107]// 00000000977C: D3D70068 1DA23954
	v_mfma_i32_16x16x32_i8 v[104:107], a[86:87], a[30:31], v[104:107]// 000000009784: D3D70068 1DA23D56
	v_mfma_i32_16x16x32_i8 v[120:123], a[88:89], a[24:25], v[120:123]// 00000000978C: D3D70078 1DE23158
	v_mfma_i32_16x16x32_i8 v[120:123], a[90:91], a[26:27], v[120:123]// 000000009794: D3D70078 1DE2355A
	v_mfma_i32_16x16x32_i8 v[120:123], a[92:93], a[28:29], v[120:123]// 00000000979C: D3D70078 1DE2395C
	v_mfma_i32_16x16x32_i8 v[120:123], a[94:95], a[30:31], v[120:123]// 0000000097A4: D3D70078 1DE23D5E
	s_waitcnt vmcnt(16)                                        // 0000000097AC: BF8C4F70
	s_barrier                                                  // 0000000097B0: BF8A0000
	v_mfma_i32_16x16x32_i8 v[124:127], a[96:97], a[0:1], v[124:127]// 0000000097B4: D3D7007C 1DF20160
	buffer_load_dwordx4 a[64:67], v54, s[84:87], 0 offen       // 0000000097BC: E05C1000 80954036
	v_mfma_i32_16x16x32_i8 v[124:127], a[98:99], a[2:3], v[124:127]// 0000000097C4: D3D7007C 1DF20562
	v_mfma_i32_16x16x32_i8 v[124:127], a[100:101], a[4:5], v[124:127]// 0000000097CC: D3D7007C 1DF20964
	ds_read_b128 a[32:35], v2 offset:8320                      // 0000000097D4: DBFE2080 20000002
	ds_read_b128 a[36:39], v2 offset:8384                      // 0000000097DC: DBFE20C0 24000002
	v_mfma_i32_16x16x32_i8 v[124:127], a[102:103], a[6:7], v[124:127]// 0000000097E4: D3D7007C 1DF20D66
	v_mfma_i32_16x16x32_i8 v[140:143], a[104:105], a[0:1], v[140:143]// 0000000097EC: D3D7008C 1E320168
	buffer_load_dwordx4 a[68:71], v54, s[84:87], 0 offen offset:1024// 0000000097F4: E05C1400 80954436
	v_mfma_i32_16x16x32_i8 v[140:143], a[106:107], a[2:3], v[140:143]// 0000000097FC: D3D7008C 1E32056A
	v_mfma_i32_16x16x32_i8 v[140:143], a[108:109], a[4:5], v[140:143]// 000000009804: D3D7008C 1E32096C
	ds_read_b128 a[40:43], v2 offset:8832                      // 00000000980C: DBFE2280 28000002
	ds_read_b128 a[44:47], v2 offset:8896                      // 000000009814: DBFE22C0 2C000002
	v_mfma_i32_16x16x32_i8 v[140:143], a[110:111], a[6:7], v[140:143]// 00000000981C: D3D7008C 1E320D6E
	v_mfma_i32_16x16x32_i8 v[156:159], a[112:113], a[0:1], v[156:159]// 000000009824: D3D7009C 1E720170
	buffer_load_dwordx4 a[72:75], v55, s[84:87], 0 offen       // 00000000982C: E05C1000 80954837
	v_mfma_i32_16x16x32_i8 v[156:159], a[114:115], a[2:3], v[156:159]// 000000009834: D3D7009C 1E720572
	v_mfma_i32_16x16x32_i8 v[156:159], a[116:117], a[4:5], v[156:159]// 00000000983C: D3D7009C 1E720974
	ds_read_b128 a[48:51], v2 offset:9344                      // 000000009844: DBFE2480 30000002
	ds_read_b128 a[52:55], v2 offset:9408                      // 00000000984C: DBFE24C0 34000002
	v_mfma_i32_16x16x32_i8 v[156:159], a[118:119], a[6:7], v[156:159]// 000000009854: D3D7009C 1E720D76
	v_mfma_i32_16x16x32_i8 v[172:175], a[120:121], a[0:1], v[172:175]// 00000000985C: D3D700AC 1EB20178
	buffer_load_dwordx4 a[76:79], v55, s[84:87], 0 offen offset:1024// 000000009864: E05C1400 80954C37
	v_mfma_i32_16x16x32_i8 v[172:175], a[122:123], a[2:3], v[172:175]// 00000000986C: D3D700AC 1EB2057A
	v_mfma_i32_16x16x32_i8 v[172:175], a[124:125], a[4:5], v[172:175]// 000000009874: D3D700AC 1EB2097C
	ds_read_b128 a[56:59], v2 offset:9856                      // 00000000987C: DBFE2680 38000002
	ds_read_b128 a[60:63], v2 offset:9920                      // 000000009884: DBFE26C0 3C000002
	v_mfma_i32_16x16x32_i8 v[172:175], a[126:127], a[6:7], v[172:175]// 00000000988C: D3D700AC 1EB20D7E
	v_mfma_i32_16x16x32_i8 v[128:131], a[96:97], a[8:9], v[128:131]// 000000009894: D3D70080 1E021160
	buffer_load_dwordx4 a[80:83], v56, s[84:87], 0 offen       // 00000000989C: E05C1000 80955038
	v_mfma_i32_16x16x32_i8 v[128:131], a[98:99], a[10:11], v[128:131]// 0000000098A4: D3D70080 1E021562
	v_mfma_i32_16x16x32_i8 v[128:131], a[100:101], a[12:13], v[128:131]// 0000000098AC: D3D70080 1E021964
	v_mfma_i32_16x16x32_i8 v[128:131], a[102:103], a[14:15], v[128:131]// 0000000098B4: D3D70080 1E021D66
	v_mfma_i32_16x16x32_i8 v[144:147], a[104:105], a[8:9], v[144:147]// 0000000098BC: D3D70090 1E421168
	buffer_load_dwordx4 a[84:87], v56, s[84:87], 0 offen offset:1024// 0000000098C4: E05C1400 80955438
	v_mfma_i32_16x16x32_i8 v[144:147], a[106:107], a[10:11], v[144:147]// 0000000098CC: D3D70090 1E42156A
	v_mfma_i32_16x16x32_i8 v[144:147], a[108:109], a[12:13], v[144:147]// 0000000098D4: D3D70090 1E42196C
	v_mfma_i32_16x16x32_i8 v[144:147], a[110:111], a[14:15], v[144:147]// 0000000098DC: D3D70090 1E421D6E
	v_mfma_i32_16x16x32_i8 v[160:163], a[112:113], a[8:9], v[160:163]// 0000000098E4: D3D700A0 1E821170
	buffer_load_dwordx4 a[88:91], v57, s[84:87], 0 offen       // 0000000098EC: E05C1000 80955839
	v_mfma_i32_16x16x32_i8 v[160:163], a[114:115], a[10:11], v[160:163]// 0000000098F4: D3D700A0 1E821572
	v_mfma_i32_16x16x32_i8 v[160:163], a[116:117], a[12:13], v[160:163]// 0000000098FC: D3D700A0 1E821974
	v_mfma_i32_16x16x32_i8 v[160:163], a[118:119], a[14:15], v[160:163]// 000000009904: D3D700A0 1E821D76
	v_mfma_i32_16x16x32_i8 v[176:179], a[120:121], a[8:9], v[176:179]// 00000000990C: D3D700B0 1EC21178
	buffer_load_dwordx4 a[92:95], v57, s[84:87], 0 offen offset:1024// 000000009914: E05C1400 80955C39
	v_mfma_i32_16x16x32_i8 v[176:179], a[122:123], a[10:11], v[176:179]// 00000000991C: D3D700B0 1EC2157A
	v_mfma_i32_16x16x32_i8 v[176:179], a[124:125], a[12:13], v[176:179]// 000000009924: D3D700B0 1EC2197C
	v_mfma_i32_16x16x32_i8 v[176:179], a[126:127], a[14:15], v[176:179]// 00000000992C: D3D700B0 1EC21D7E
	v_mfma_i32_16x16x32_i8 v[132:135], a[96:97], a[16:17], v[132:135]// 000000009934: D3D70084 1E122160
	v_mfma_i32_16x16x32_i8 v[132:135], a[98:99], a[18:19], v[132:135]// 00000000993C: D3D70084 1E122562
	v_mfma_i32_16x16x32_i8 v[132:135], a[100:101], a[20:21], v[132:135]// 000000009944: D3D70084 1E122964
	v_mfma_i32_16x16x32_i8 v[132:135], a[102:103], a[22:23], v[132:135]// 00000000994C: D3D70084 1E122D66
	v_mfma_i32_16x16x32_i8 v[148:151], a[104:105], a[16:17], v[148:151]// 000000009954: D3D70094 1E522168
	v_mfma_i32_16x16x32_i8 v[148:151], a[106:107], a[18:19], v[148:151]// 00000000995C: D3D70094 1E52256A
	v_mfma_i32_16x16x32_i8 v[148:151], a[108:109], a[20:21], v[148:151]// 000000009964: D3D70094 1E52296C
	v_mfma_i32_16x16x32_i8 v[148:151], a[110:111], a[22:23], v[148:151]// 00000000996C: D3D70094 1E522D6E
	v_mfma_i32_16x16x32_i8 v[164:167], a[112:113], a[16:17], v[164:167]// 000000009974: D3D700A4 1E922170
	v_mfma_i32_16x16x32_i8 v[164:167], a[114:115], a[18:19], v[164:167]// 00000000997C: D3D700A4 1E922572
	v_mfma_i32_16x16x32_i8 v[164:167], a[116:117], a[20:21], v[164:167]// 000000009984: D3D700A4 1E922974
	v_mfma_i32_16x16x32_i8 v[164:167], a[118:119], a[22:23], v[164:167]// 00000000998C: D3D700A4 1E922D76
	v_mfma_i32_16x16x32_i8 v[180:183], a[120:121], a[16:17], v[180:183]// 000000009994: D3D700B4 1ED22178
	v_mfma_i32_16x16x32_i8 v[180:183], a[122:123], a[18:19], v[180:183]// 00000000999C: D3D700B4 1ED2257A
	v_mfma_i32_16x16x32_i8 v[180:183], a[124:125], a[20:21], v[180:183]// 0000000099A4: D3D700B4 1ED2297C
	v_mfma_i32_16x16x32_i8 v[180:183], a[126:127], a[22:23], v[180:183]// 0000000099AC: D3D700B4 1ED22D7E
	v_mfma_i32_16x16x32_i8 v[136:139], a[96:97], a[24:25], v[136:139]// 0000000099B4: D3D70088 1E223160
	v_mfma_i32_16x16x32_i8 v[136:139], a[98:99], a[26:27], v[136:139]// 0000000099BC: D3D70088 1E223562
	v_mfma_i32_16x16x32_i8 v[136:139], a[100:101], a[28:29], v[136:139]// 0000000099C4: D3D70088 1E223964
	v_mfma_i32_16x16x32_i8 v[136:139], a[102:103], a[30:31], v[136:139]// 0000000099CC: D3D70088 1E223D66
	v_mfma_i32_16x16x32_i8 v[152:155], a[104:105], a[24:25], v[152:155]// 0000000099D4: D3D70098 1E623168
	v_mfma_i32_16x16x32_i8 v[152:155], a[106:107], a[26:27], v[152:155]// 0000000099DC: D3D70098 1E62356A
	v_mfma_i32_16x16x32_i8 v[152:155], a[108:109], a[28:29], v[152:155]// 0000000099E4: D3D70098 1E62396C
	v_mfma_i32_16x16x32_i8 v[152:155], a[110:111], a[30:31], v[152:155]// 0000000099EC: D3D70098 1E623D6E
	v_mfma_i32_16x16x32_i8 v[168:171], a[112:113], a[24:25], v[168:171]// 0000000099F4: D3D700A8 1EA23170
	s_add_u32 s60, 0x180, s80                                  // 0000000099FC: 803C50FF 00000180
	s_cmp_lt_u32 s60, s81                                      // 000000009A04: BF0A513C
	s_cselect_b32 s57, s57, 0                                  // 000000009A08: 85398039
	v_mfma_i32_16x16x32_i8 v[168:171], a[114:115], a[26:27], v[168:171]// 000000009A0C: D3D700A8 1EA23572
	s_add_u32 s60, 0x100, s80                                  // 000000009A14: 803C50FF 00000100
	s_cmp_lt_u32 s60, s81                                      // 000000009A1C: BF0A513C
	s_cselect_b32 s58, s58, 0                                  // 000000009A20: 853A803A
	v_mfma_i32_16x16x32_i8 v[168:171], a[116:117], a[28:29], v[168:171]// 000000009A24: D3D700A8 1EA23974
	s_add_u32 s60, 0x100, s80                                  // 000000009A2C: 803C50FF 00000100
	s_cmp_lt_u32 s60, s81                                      // 000000009A34: BF0A513C
	s_cselect_b32 s83, s83, 0                                  // 000000009A38: 85538053
	v_mfma_i32_16x16x32_i8 v[168:171], a[118:119], a[30:31], v[168:171]// 000000009A3C: D3D700A8 1EA23D76
	s_add_u32 s24, s58, s24                                    // 000000009A44: 8018183A
	s_addc_u32 s25, 0, s25                                     // 000000009A48: 82191980
	v_mfma_i32_16x16x32_i8 v[184:187], a[120:121], a[24:25], v[184:187]// 000000009A4C: D3D700B8 1EE23178
	s_add_u32 s20, s57, s20                                    // 000000009A54: 80141439
	s_addc_u32 s21, 0, s21                                     // 000000009A58: 82151580
	v_mfma_i32_16x16x32_i8 v[184:187], a[122:123], a[26:27], v[184:187]// 000000009A5C: D3D700B8 1EE2357A
	s_add_u32 s84, s83, s84                                    // 000000009A64: 80545453
	s_addc_u32 s85, 0, s85                                     // 000000009A68: 82555580
	v_mfma_i32_16x16x32_i8 v[184:187], a[124:125], a[28:29], v[184:187]// 000000009A6C: D3D700B8 1EE2397C
	v_mfma_i32_16x16x32_i8 v[184:187], a[126:127], a[30:31], v[184:187]// 000000009A74: D3D700B8 1EE23D7E
	s_addk_i32 s80, 0x80                                       // 000000009A7C: B7500080
	s_cmp_lt_i32 s80, s81                                      // 000000009A80: BF045150
	s_cbranch_scc0 label_2329                                  // 000000009A84: BF840704
	s_waitcnt vmcnt(16) lgkmcnt(0)                             // 000000009A88: BF8C4070
	v_mfma_i32_16x16x32_i8 v[60:63], a[128:129], a[32:33], v[60:63]// 000000009A8C: D3D7003C 1CF24180
	buffer_load_dwordx4 a[96:99], v54, s[24:27], 0 offen       // 000000009A94: E05C1000 80866036
	v_mfma_i32_16x16x32_i8 v[60:63], a[130:131], a[34:35], v[60:63]// 000000009A9C: D3D7003C 1CF24582
	v_mfma_i32_16x16x32_i8 v[60:63], a[132:133], a[36:37], v[60:63]// 000000009AA4: D3D7003C 1CF24984
	v_mfma_i32_16x16x32_i8 v[60:63], a[134:135], a[38:39], v[60:63]// 000000009AAC: D3D7003C 1CF24D86
	v_mfma_i32_16x16x32_i8 v[76:79], a[136:137], a[32:33], v[76:79]// 000000009AB4: D3D7004C 1D324188
	buffer_load_dwordx4 a[100:103], v54, s[24:27], 0 offen offset:1024// 000000009ABC: E05C1400 80866436
	v_mfma_i32_16x16x32_i8 v[76:79], a[138:139], a[34:35], v[76:79]// 000000009AC4: D3D7004C 1D32458A
	v_mfma_i32_16x16x32_i8 v[76:79], a[140:141], a[36:37], v[76:79]// 000000009ACC: D3D7004C 1D32498C
	v_mfma_i32_16x16x32_i8 v[76:79], a[142:143], a[38:39], v[76:79]// 000000009AD4: D3D7004C 1D324D8E
	v_mfma_i32_16x16x32_i8 v[92:95], a[144:145], a[32:33], v[92:95]// 000000009ADC: D3D7005C 1D724190
	buffer_load_dwordx4 a[104:107], v55, s[24:27], 0 offen     // 000000009AE4: E05C1000 80866837
	v_mfma_i32_16x16x32_i8 v[92:95], a[146:147], a[34:35], v[92:95]// 000000009AEC: D3D7005C 1D724592
	v_mfma_i32_16x16x32_i8 v[92:95], a[148:149], a[36:37], v[92:95]// 000000009AF4: D3D7005C 1D724994
	v_mfma_i32_16x16x32_i8 v[92:95], a[150:151], a[38:39], v[92:95]// 000000009AFC: D3D7005C 1D724D96
	v_mfma_i32_16x16x32_i8 v[108:111], a[152:153], a[32:33], v[108:111]// 000000009B04: D3D7006C 1DB24198
	buffer_load_dwordx4 a[108:111], v55, s[24:27], 0 offen offset:1024// 000000009B0C: E05C1400 80866C37
	v_mfma_i32_16x16x32_i8 v[108:111], a[154:155], a[34:35], v[108:111]// 000000009B14: D3D7006C 1DB2459A
	v_mfma_i32_16x16x32_i8 v[108:111], a[156:157], a[36:37], v[108:111]// 000000009B1C: D3D7006C 1DB2499C
	v_mfma_i32_16x16x32_i8 v[108:111], a[158:159], a[38:39], v[108:111]// 000000009B24: D3D7006C 1DB24D9E
	v_mfma_i32_16x16x32_i8 v[64:67], a[128:129], a[40:41], v[64:67]// 000000009B2C: D3D70040 1D025180
	buffer_load_dwordx4 a[112:115], v56, s[24:27], 0 offen     // 000000009B34: E05C1000 80867038
	v_mfma_i32_16x16x32_i8 v[64:67], a[130:131], a[42:43], v[64:67]// 000000009B3C: D3D70040 1D025582
	v_mfma_i32_16x16x32_i8 v[64:67], a[132:133], a[44:45], v[64:67]// 000000009B44: D3D70040 1D025984
	v_mfma_i32_16x16x32_i8 v[64:67], a[134:135], a[46:47], v[64:67]// 000000009B4C: D3D70040 1D025D86
	v_mfma_i32_16x16x32_i8 v[80:83], a[136:137], a[40:41], v[80:83]// 000000009B54: D3D70050 1D425188
	buffer_load_dwordx4 a[116:119], v56, s[24:27], 0 offen offset:1024// 000000009B5C: E05C1400 80867438
	v_mfma_i32_16x16x32_i8 v[80:83], a[138:139], a[42:43], v[80:83]// 000000009B64: D3D70050 1D42558A
	v_mfma_i32_16x16x32_i8 v[80:83], a[140:141], a[44:45], v[80:83]// 000000009B6C: D3D70050 1D42598C
	v_mfma_i32_16x16x32_i8 v[80:83], a[142:143], a[46:47], v[80:83]// 000000009B74: D3D70050 1D425D8E
	v_mfma_i32_16x16x32_i8 v[96:99], a[144:145], a[40:41], v[96:99]// 000000009B7C: D3D70060 1D825190
	buffer_load_dwordx4 a[120:123], v57, s[24:27], 0 offen     // 000000009B84: E05C1000 80867839
	v_mfma_i32_16x16x32_i8 v[96:99], a[146:147], a[42:43], v[96:99]// 000000009B8C: D3D70060 1D825592
	v_mfma_i32_16x16x32_i8 v[96:99], a[148:149], a[44:45], v[96:99]// 000000009B94: D3D70060 1D825994
	v_mfma_i32_16x16x32_i8 v[96:99], a[150:151], a[46:47], v[96:99]// 000000009B9C: D3D70060 1D825D96
	v_mfma_i32_16x16x32_i8 v[112:115], a[152:153], a[40:41], v[112:115]// 000000009BA4: D3D70070 1DC25198
	buffer_load_dwordx4 a[124:127], v57, s[24:27], 0 offen offset:1024// 000000009BAC: E05C1400 80867C39
	buffer_load_dword v46, s[20:23], 0 offen lds               // 000000009BB4: E0511000 8005002E
	s_add_u32 m0, 0x100, s48                                   // 000000009BBC: 807C30FF 00000100
	v_mfma_i32_16x16x32_i8 v[112:115], a[154:155], a[42:43], v[112:115]// 000000009BC4: D3D70070 1DC2559A
	v_mfma_i32_16x16x32_i8 v[112:115], a[156:157], a[44:45], v[112:115]// 000000009BCC: D3D70070 1DC2599C
	buffer_load_dword v47, s[20:23], 0 offen lds               // 000000009BD4: E0511000 8005002F
	s_add_u32 m0, 0x200, s48                                   // 000000009BDC: 807C30FF 00000200
	v_mfma_i32_16x16x32_i8 v[112:115], a[158:159], a[46:47], v[112:115]// 000000009BE4: D3D70070 1DC25D9E
	v_mfma_i32_16x16x32_i8 v[68:71], a[128:129], a[48:49], v[68:71]// 000000009BEC: D3D70044 1D126180
	buffer_load_dword v48, s[20:23], 0 offen lds               // 000000009BF4: E0511000 80050030
	s_add_u32 m0, 0x300, s48                                   // 000000009BFC: 807C30FF 00000300
	v_mfma_i32_16x16x32_i8 v[68:71], a[130:131], a[50:51], v[68:71]// 000000009C04: D3D70044 1D126582
	v_mfma_i32_16x16x32_i8 v[68:71], a[132:133], a[52:53], v[68:71]// 000000009C0C: D3D70044 1D126984
	buffer_load_dword v49, s[20:23], 0 offen lds               // 000000009C14: E0511000 80050031
	s_add_u32 m0, 0x400, s48                                   // 000000009C1C: 807C30FF 00000400
	v_mfma_i32_16x16x32_i8 v[68:71], a[134:135], a[54:55], v[68:71]// 000000009C24: D3D70044 1D126D86
	v_mfma_i32_16x16x32_i8 v[84:87], a[136:137], a[48:49], v[84:87]// 000000009C2C: D3D70054 1D526188
	buffer_load_dword v50, s[20:23], 0 offen lds               // 000000009C34: E0511000 80050032
	s_add_u32 m0, 0x500, s48                                   // 000000009C3C: 807C30FF 00000500
	v_mfma_i32_16x16x32_i8 v[84:87], a[138:139], a[50:51], v[84:87]// 000000009C44: D3D70054 1D52658A
	v_mfma_i32_16x16x32_i8 v[84:87], a[140:141], a[52:53], v[84:87]// 000000009C4C: D3D70054 1D52698C
	buffer_load_dword v51, s[20:23], 0 offen lds               // 000000009C54: E0511000 80050033
	s_add_u32 m0, 0x600, s48                                   // 000000009C5C: 807C30FF 00000600
	v_mfma_i32_16x16x32_i8 v[84:87], a[142:143], a[54:55], v[84:87]// 000000009C64: D3D70054 1D526D8E
	v_mfma_i32_16x16x32_i8 v[100:103], a[144:145], a[48:49], v[100:103]// 000000009C6C: D3D70064 1D926190
	buffer_load_dword v52, s[20:23], 0 offen lds               // 000000009C74: E0511000 80050034
	s_add_u32 m0, 0x700, s48                                   // 000000009C7C: 807C30FF 00000700
	v_mfma_i32_16x16x32_i8 v[100:103], a[146:147], a[50:51], v[100:103]// 000000009C84: D3D70064 1D926592
	v_mfma_i32_16x16x32_i8 v[100:103], a[148:149], a[52:53], v[100:103]// 000000009C8C: D3D70064 1D926994
	buffer_load_dword v53, s[20:23], 0 offen lds               // 000000009C94: E0511000 80050035
	s_add_u32 m0, 0, s49                                       // 000000009C9C: 807C3180
	v_mfma_i32_16x16x32_i8 v[100:103], a[150:151], a[54:55], v[100:103]// 000000009CA0: D3D70064 1D926D96
	v_mfma_i32_16x16x32_i8 v[116:119], a[152:153], a[48:49], v[116:119]// 000000009CA8: D3D70074 1DD26198
	v_mfma_i32_16x16x32_i8 v[116:119], a[154:155], a[50:51], v[116:119]// 000000009CB0: D3D70074 1DD2659A
	v_mfma_i32_16x16x32_i8 v[116:119], a[156:157], a[52:53], v[116:119]// 000000009CB8: D3D70074 1DD2699C
	v_mfma_i32_16x16x32_i8 v[116:119], a[158:159], a[54:55], v[116:119]// 000000009CC0: D3D70074 1DD26D9E
	v_mfma_i32_16x16x32_i8 v[72:75], a[128:129], a[56:57], v[72:75]// 000000009CC8: D3D70048 1D227180
	v_mfma_i32_16x16x32_i8 v[72:75], a[130:131], a[58:59], v[72:75]// 000000009CD0: D3D70048 1D227582
	v_mfma_i32_16x16x32_i8 v[72:75], a[132:133], a[60:61], v[72:75]// 000000009CD8: D3D70048 1D227984
	v_mfma_i32_16x16x32_i8 v[72:75], a[134:135], a[62:63], v[72:75]// 000000009CE0: D3D70048 1D227D86
	v_mfma_i32_16x16x32_i8 v[88:91], a[136:137], a[56:57], v[88:91]// 000000009CE8: D3D70058 1D627188
	v_mfma_i32_16x16x32_i8 v[88:91], a[138:139], a[58:59], v[88:91]// 000000009CF0: D3D70058 1D62758A
	v_mfma_i32_16x16x32_i8 v[88:91], a[140:141], a[60:61], v[88:91]// 000000009CF8: D3D70058 1D62798C
	v_mfma_i32_16x16x32_i8 v[88:91], a[142:143], a[62:63], v[88:91]// 000000009D00: D3D70058 1D627D8E
	v_mfma_i32_16x16x32_i8 v[104:107], a[144:145], a[56:57], v[104:107]// 000000009D08: D3D70068 1DA27190
	v_mfma_i32_16x16x32_i8 v[104:107], a[146:147], a[58:59], v[104:107]// 000000009D10: D3D70068 1DA27592
	v_mfma_i32_16x16x32_i8 v[104:107], a[148:149], a[60:61], v[104:107]// 000000009D18: D3D70068 1DA27994
	v_mfma_i32_16x16x32_i8 v[104:107], a[150:151], a[62:63], v[104:107]// 000000009D20: D3D70068 1DA27D96
	v_mfma_i32_16x16x32_i8 v[120:123], a[152:153], a[56:57], v[120:123]// 000000009D28: D3D70078 1DE27198
	v_mfma_i32_16x16x32_i8 v[120:123], a[154:155], a[58:59], v[120:123]// 000000009D30: D3D70078 1DE2759A
	v_mfma_i32_16x16x32_i8 v[120:123], a[156:157], a[60:61], v[120:123]// 000000009D38: D3D70078 1DE2799C
	v_mfma_i32_16x16x32_i8 v[120:123], a[158:159], a[62:63], v[120:123]// 000000009D40: D3D70078 1DE27D9E
	s_waitcnt vmcnt(16)                                        // 000000009D48: BF8C4F70
	s_barrier                                                  // 000000009D4C: BF8A0000
	v_mfma_i32_16x16x32_i8 v[124:127], a[64:65], a[32:33], v[124:127]// 000000009D50: D3D7007C 1DF24140
	buffer_load_dwordx4 a[128:131], v54, s[84:87], 0 offen     // 000000009D58: E05C1000 80958036
	v_mfma_i32_16x16x32_i8 v[124:127], a[66:67], a[34:35], v[124:127]// 000000009D60: D3D7007C 1DF24542
	v_mfma_i32_16x16x32_i8 v[124:127], a[68:69], a[36:37], v[124:127]// 000000009D68: D3D7007C 1DF24944
	ds_read_b128 a[0:3], v2 offset:16640                       // 000000009D70: DBFE4100 00000002
	ds_read_b128 a[4:7], v2 offset:16704                       // 000000009D78: DBFE4140 04000002
	v_mfma_i32_16x16x32_i8 v[124:127], a[70:71], a[38:39], v[124:127]// 000000009D80: D3D7007C 1DF24D46
	v_mfma_i32_16x16x32_i8 v[140:143], a[72:73], a[32:33], v[140:143]// 000000009D88: D3D7008C 1E324148
	buffer_load_dwordx4 a[132:135], v54, s[84:87], 0 offen offset:1024// 000000009D90: E05C1400 80958436
	v_mfma_i32_16x16x32_i8 v[140:143], a[74:75], a[34:35], v[140:143]// 000000009D98: D3D7008C 1E32454A
	v_mfma_i32_16x16x32_i8 v[140:143], a[76:77], a[36:37], v[140:143]// 000000009DA0: D3D7008C 1E32494C
	ds_read_b128 a[8:11], v2 offset:17152                      // 000000009DA8: DBFE4300 08000002
	ds_read_b128 a[12:15], v2 offset:17216                     // 000000009DB0: DBFE4340 0C000002
	v_mfma_i32_16x16x32_i8 v[140:143], a[78:79], a[38:39], v[140:143]// 000000009DB8: D3D7008C 1E324D4E
	v_mfma_i32_16x16x32_i8 v[156:159], a[80:81], a[32:33], v[156:159]// 000000009DC0: D3D7009C 1E724150
	buffer_load_dwordx4 a[136:139], v55, s[84:87], 0 offen     // 000000009DC8: E05C1000 80958837
	v_mfma_i32_16x16x32_i8 v[156:159], a[82:83], a[34:35], v[156:159]// 000000009DD0: D3D7009C 1E724552
	v_mfma_i32_16x16x32_i8 v[156:159], a[84:85], a[36:37], v[156:159]// 000000009DD8: D3D7009C 1E724954
	ds_read_b128 a[16:19], v2 offset:17664                     // 000000009DE0: DBFE4500 10000002
	ds_read_b128 a[20:23], v2 offset:17728                     // 000000009DE8: DBFE4540 14000002
	v_mfma_i32_16x16x32_i8 v[156:159], a[86:87], a[38:39], v[156:159]// 000000009DF0: D3D7009C 1E724D56
	v_mfma_i32_16x16x32_i8 v[172:175], a[88:89], a[32:33], v[172:175]// 000000009DF8: D3D700AC 1EB24158
	buffer_load_dwordx4 a[140:143], v55, s[84:87], 0 offen offset:1024// 000000009E00: E05C1400 80958C37
	v_mfma_i32_16x16x32_i8 v[172:175], a[90:91], a[34:35], v[172:175]// 000000009E08: D3D700AC 1EB2455A
	v_mfma_i32_16x16x32_i8 v[172:175], a[92:93], a[36:37], v[172:175]// 000000009E10: D3D700AC 1EB2495C
	ds_read_b128 a[24:27], v2 offset:18176                     // 000000009E18: DBFE4700 18000002
	ds_read_b128 a[28:31], v2 offset:18240                     // 000000009E20: DBFE4740 1C000002
	v_mfma_i32_16x16x32_i8 v[172:175], a[94:95], a[38:39], v[172:175]// 000000009E28: D3D700AC 1EB24D5E
	v_mfma_i32_16x16x32_i8 v[128:131], a[64:65], a[40:41], v[128:131]// 000000009E30: D3D70080 1E025140
	buffer_load_dwordx4 a[144:147], v56, s[84:87], 0 offen     // 000000009E38: E05C1000 80959038
	v_mfma_i32_16x16x32_i8 v[128:131], a[66:67], a[42:43], v[128:131]// 000000009E40: D3D70080 1E025542
	v_mfma_i32_16x16x32_i8 v[128:131], a[68:69], a[44:45], v[128:131]// 000000009E48: D3D70080 1E025944
	v_mfma_i32_16x16x32_i8 v[128:131], a[70:71], a[46:47], v[128:131]// 000000009E50: D3D70080 1E025D46
	v_mfma_i32_16x16x32_i8 v[144:147], a[72:73], a[40:41], v[144:147]// 000000009E58: D3D70090 1E425148
	buffer_load_dwordx4 a[148:151], v56, s[84:87], 0 offen offset:1024// 000000009E60: E05C1400 80959438
	v_mfma_i32_16x16x32_i8 v[144:147], a[74:75], a[42:43], v[144:147]// 000000009E68: D3D70090 1E42554A
	v_mfma_i32_16x16x32_i8 v[144:147], a[76:77], a[44:45], v[144:147]// 000000009E70: D3D70090 1E42594C
	v_mfma_i32_16x16x32_i8 v[144:147], a[78:79], a[46:47], v[144:147]// 000000009E78: D3D70090 1E425D4E
	v_mfma_i32_16x16x32_i8 v[160:163], a[80:81], a[40:41], v[160:163]// 000000009E80: D3D700A0 1E825150
	buffer_load_dwordx4 a[152:155], v57, s[84:87], 0 offen     // 000000009E88: E05C1000 80959839
	v_mfma_i32_16x16x32_i8 v[160:163], a[82:83], a[42:43], v[160:163]// 000000009E90: D3D700A0 1E825552
	v_mfma_i32_16x16x32_i8 v[160:163], a[84:85], a[44:45], v[160:163]// 000000009E98: D3D700A0 1E825954
	v_mfma_i32_16x16x32_i8 v[160:163], a[86:87], a[46:47], v[160:163]// 000000009EA0: D3D700A0 1E825D56
	v_mfma_i32_16x16x32_i8 v[176:179], a[88:89], a[40:41], v[176:179]// 000000009EA8: D3D700B0 1EC25158
	buffer_load_dwordx4 a[156:159], v57, s[84:87], 0 offen offset:1024// 000000009EB0: E05C1400 80959C39
	v_mfma_i32_16x16x32_i8 v[176:179], a[90:91], a[42:43], v[176:179]// 000000009EB8: D3D700B0 1EC2555A
	v_mfma_i32_16x16x32_i8 v[176:179], a[92:93], a[44:45], v[176:179]// 000000009EC0: D3D700B0 1EC2595C
	v_mfma_i32_16x16x32_i8 v[176:179], a[94:95], a[46:47], v[176:179]// 000000009EC8: D3D700B0 1EC25D5E
	v_mfma_i32_16x16x32_i8 v[132:135], a[64:65], a[48:49], v[132:135]// 000000009ED0: D3D70084 1E126140
	v_mfma_i32_16x16x32_i8 v[132:135], a[66:67], a[50:51], v[132:135]// 000000009ED8: D3D70084 1E126542
	v_mfma_i32_16x16x32_i8 v[132:135], a[68:69], a[52:53], v[132:135]// 000000009EE0: D3D70084 1E126944
	v_mfma_i32_16x16x32_i8 v[132:135], a[70:71], a[54:55], v[132:135]// 000000009EE8: D3D70084 1E126D46
	v_mfma_i32_16x16x32_i8 v[148:151], a[72:73], a[48:49], v[148:151]// 000000009EF0: D3D70094 1E526148
	v_mfma_i32_16x16x32_i8 v[148:151], a[74:75], a[50:51], v[148:151]// 000000009EF8: D3D70094 1E52654A
	v_mfma_i32_16x16x32_i8 v[148:151], a[76:77], a[52:53], v[148:151]// 000000009F00: D3D70094 1E52694C
	v_mfma_i32_16x16x32_i8 v[148:151], a[78:79], a[54:55], v[148:151]// 000000009F08: D3D70094 1E526D4E
	v_mfma_i32_16x16x32_i8 v[164:167], a[80:81], a[48:49], v[164:167]// 000000009F10: D3D700A4 1E926150
	v_mfma_i32_16x16x32_i8 v[164:167], a[82:83], a[50:51], v[164:167]// 000000009F18: D3D700A4 1E926552
	v_mfma_i32_16x16x32_i8 v[164:167], a[84:85], a[52:53], v[164:167]// 000000009F20: D3D700A4 1E926954
	v_mfma_i32_16x16x32_i8 v[164:167], a[86:87], a[54:55], v[164:167]// 000000009F28: D3D700A4 1E926D56
	v_mfma_i32_16x16x32_i8 v[180:183], a[88:89], a[48:49], v[180:183]// 000000009F30: D3D700B4 1ED26158
	v_mfma_i32_16x16x32_i8 v[180:183], a[90:91], a[50:51], v[180:183]// 000000009F38: D3D700B4 1ED2655A
	v_mfma_i32_16x16x32_i8 v[180:183], a[92:93], a[52:53], v[180:183]// 000000009F40: D3D700B4 1ED2695C
	v_mfma_i32_16x16x32_i8 v[180:183], a[94:95], a[54:55], v[180:183]// 000000009F48: D3D700B4 1ED26D5E
	v_mfma_i32_16x16x32_i8 v[136:139], a[64:65], a[56:57], v[136:139]// 000000009F50: D3D70088 1E227140
	v_mfma_i32_16x16x32_i8 v[136:139], a[66:67], a[58:59], v[136:139]// 000000009F58: D3D70088 1E227542
	v_mfma_i32_16x16x32_i8 v[136:139], a[68:69], a[60:61], v[136:139]// 000000009F60: D3D70088 1E227944
	v_mfma_i32_16x16x32_i8 v[136:139], a[70:71], a[62:63], v[136:139]// 000000009F68: D3D70088 1E227D46
	v_mfma_i32_16x16x32_i8 v[152:155], a[72:73], a[56:57], v[152:155]// 000000009F70: D3D70098 1E627148
	v_mfma_i32_16x16x32_i8 v[152:155], a[74:75], a[58:59], v[152:155]// 000000009F78: D3D70098 1E62754A
	v_mfma_i32_16x16x32_i8 v[152:155], a[76:77], a[60:61], v[152:155]// 000000009F80: D3D70098 1E62794C
	v_mfma_i32_16x16x32_i8 v[152:155], a[78:79], a[62:63], v[152:155]// 000000009F88: D3D70098 1E627D4E
	v_mfma_i32_16x16x32_i8 v[168:171], a[80:81], a[56:57], v[168:171]// 000000009F90: D3D700A8 1EA27150
	s_add_u32 s60, 0x180, s80                                  // 000000009F98: 803C50FF 00000180
	s_cmp_lt_u32 s60, s81                                      // 000000009FA0: BF0A513C
	s_cselect_b32 s57, s57, 0                                  // 000000009FA4: 85398039
	v_mfma_i32_16x16x32_i8 v[168:171], a[82:83], a[58:59], v[168:171]// 000000009FA8: D3D700A8 1EA27552
	s_add_u32 s60, 0x100, s80                                  // 000000009FB0: 803C50FF 00000100
	s_cmp_lt_u32 s60, s81                                      // 000000009FB8: BF0A513C
	s_cselect_b32 s58, s58, 0                                  // 000000009FBC: 853A803A
	v_mfma_i32_16x16x32_i8 v[168:171], a[84:85], a[60:61], v[168:171]// 000000009FC0: D3D700A8 1EA27954
	s_add_u32 s60, 0x100, s80                                  // 000000009FC8: 803C50FF 00000100
	s_cmp_lt_u32 s60, s81                                      // 000000009FD0: BF0A513C
	s_cselect_b32 s83, s83, 0                                  // 000000009FD4: 85538053
	v_mfma_i32_16x16x32_i8 v[168:171], a[86:87], a[62:63], v[168:171]// 000000009FD8: D3D700A8 1EA27D56
	s_add_u32 s24, s58, s24                                    // 000000009FE0: 8018183A
	s_addc_u32 s25, 0, s25                                     // 000000009FE4: 82191980
	v_mfma_i32_16x16x32_i8 v[184:187], a[88:89], a[56:57], v[184:187]// 000000009FE8: D3D700B8 1EE27158
	s_add_u32 s20, s57, s20                                    // 000000009FF0: 80141439
	s_addc_u32 s21, 0, s21                                     // 000000009FF4: 82151580
	v_mfma_i32_16x16x32_i8 v[184:187], a[90:91], a[58:59], v[184:187]// 000000009FF8: D3D700B8 1EE2755A
	s_add_u32 s84, s83, s84                                    // 00000000A000: 80545453
	s_addc_u32 s85, 0, s85                                     // 00000000A004: 82555580
	v_mfma_i32_16x16x32_i8 v[184:187], a[92:93], a[60:61], v[184:187]// 00000000A008: D3D700B8 1EE2795C
	v_mfma_i32_16x16x32_i8 v[184:187], a[94:95], a[62:63], v[184:187]// 00000000A010: D3D700B8 1EE27D5E
	s_addk_i32 s80, 0x80                                       // 00000000A018: B7500080
	s_cmp_lt_i32 s80, s81                                      // 00000000A01C: BF045150
	s_cbranch_scc0 label_2329                                  // 00000000A020: BF84059D
	s_waitcnt vmcnt(16) lgkmcnt(0)                             // 00000000A024: BF8C4070
	v_mfma_i32_16x16x32_i8 v[60:63], a[96:97], a[0:1], v[60:63]// 00000000A028: D3D7003C 1CF20160
	buffer_load_dwordx4 a[64:67], v54, s[24:27], 0 offen       // 00000000A030: E05C1000 80864036
	v_mfma_i32_16x16x32_i8 v[60:63], a[98:99], a[2:3], v[60:63]// 00000000A038: D3D7003C 1CF20562
	v_mfma_i32_16x16x32_i8 v[60:63], a[100:101], a[4:5], v[60:63]// 00000000A040: D3D7003C 1CF20964
	v_mfma_i32_16x16x32_i8 v[60:63], a[102:103], a[6:7], v[60:63]// 00000000A048: D3D7003C 1CF20D66
	v_mfma_i32_16x16x32_i8 v[76:79], a[104:105], a[0:1], v[76:79]// 00000000A050: D3D7004C 1D320168
	buffer_load_dwordx4 a[68:71], v54, s[24:27], 0 offen offset:1024// 00000000A058: E05C1400 80864436
	v_mfma_i32_16x16x32_i8 v[76:79], a[106:107], a[2:3], v[76:79]// 00000000A060: D3D7004C 1D32056A
	v_mfma_i32_16x16x32_i8 v[76:79], a[108:109], a[4:5], v[76:79]// 00000000A068: D3D7004C 1D32096C
	v_mfma_i32_16x16x32_i8 v[76:79], a[110:111], a[6:7], v[76:79]// 00000000A070: D3D7004C 1D320D6E
	v_mfma_i32_16x16x32_i8 v[92:95], a[112:113], a[0:1], v[92:95]// 00000000A078: D3D7005C 1D720170
	buffer_load_dwordx4 a[72:75], v55, s[24:27], 0 offen       // 00000000A080: E05C1000 80864837
	v_mfma_i32_16x16x32_i8 v[92:95], a[114:115], a[2:3], v[92:95]// 00000000A088: D3D7005C 1D720572
	v_mfma_i32_16x16x32_i8 v[92:95], a[116:117], a[4:5], v[92:95]// 00000000A090: D3D7005C 1D720974
	v_mfma_i32_16x16x32_i8 v[92:95], a[118:119], a[6:7], v[92:95]// 00000000A098: D3D7005C 1D720D76
	v_mfma_i32_16x16x32_i8 v[108:111], a[120:121], a[0:1], v[108:111]// 00000000A0A0: D3D7006C 1DB20178
	buffer_load_dwordx4 a[76:79], v55, s[24:27], 0 offen offset:1024// 00000000A0A8: E05C1400 80864C37
	v_mfma_i32_16x16x32_i8 v[108:111], a[122:123], a[2:3], v[108:111]// 00000000A0B0: D3D7006C 1DB2057A
	v_mfma_i32_16x16x32_i8 v[108:111], a[124:125], a[4:5], v[108:111]// 00000000A0B8: D3D7006C 1DB2097C
	v_mfma_i32_16x16x32_i8 v[108:111], a[126:127], a[6:7], v[108:111]// 00000000A0C0: D3D7006C 1DB20D7E
	v_mfma_i32_16x16x32_i8 v[64:67], a[96:97], a[8:9], v[64:67]// 00000000A0C8: D3D70040 1D021160
	buffer_load_dwordx4 a[80:83], v56, s[24:27], 0 offen       // 00000000A0D0: E05C1000 80865038
	v_mfma_i32_16x16x32_i8 v[64:67], a[98:99], a[10:11], v[64:67]// 00000000A0D8: D3D70040 1D021562
	v_mfma_i32_16x16x32_i8 v[64:67], a[100:101], a[12:13], v[64:67]// 00000000A0E0: D3D70040 1D021964
	v_mfma_i32_16x16x32_i8 v[64:67], a[102:103], a[14:15], v[64:67]// 00000000A0E8: D3D70040 1D021D66
	v_mfma_i32_16x16x32_i8 v[80:83], a[104:105], a[8:9], v[80:83]// 00000000A0F0: D3D70050 1D421168
	buffer_load_dwordx4 a[84:87], v56, s[24:27], 0 offen offset:1024// 00000000A0F8: E05C1400 80865438
	v_mfma_i32_16x16x32_i8 v[80:83], a[106:107], a[10:11], v[80:83]// 00000000A100: D3D70050 1D42156A
	v_mfma_i32_16x16x32_i8 v[80:83], a[108:109], a[12:13], v[80:83]// 00000000A108: D3D70050 1D42196C
	v_mfma_i32_16x16x32_i8 v[80:83], a[110:111], a[14:15], v[80:83]// 00000000A110: D3D70050 1D421D6E
	v_mfma_i32_16x16x32_i8 v[96:99], a[112:113], a[8:9], v[96:99]// 00000000A118: D3D70060 1D821170
	buffer_load_dwordx4 a[88:91], v57, s[24:27], 0 offen       // 00000000A120: E05C1000 80865839
	v_mfma_i32_16x16x32_i8 v[96:99], a[114:115], a[10:11], v[96:99]// 00000000A128: D3D70060 1D821572
	v_mfma_i32_16x16x32_i8 v[96:99], a[116:117], a[12:13], v[96:99]// 00000000A130: D3D70060 1D821974
	v_mfma_i32_16x16x32_i8 v[96:99], a[118:119], a[14:15], v[96:99]// 00000000A138: D3D70060 1D821D76
	v_mfma_i32_16x16x32_i8 v[112:115], a[120:121], a[8:9], v[112:115]// 00000000A140: D3D70070 1DC21178
	buffer_load_dwordx4 a[92:95], v57, s[24:27], 0 offen offset:1024// 00000000A148: E05C1400 80865C39
	buffer_load_dword v46, s[20:23], 0 offen lds               // 00000000A150: E0511000 8005002E
	s_add_u32 m0, 0x100, s49                                   // 00000000A158: 807C31FF 00000100
	v_mfma_i32_16x16x32_i8 v[112:115], a[122:123], a[10:11], v[112:115]// 00000000A160: D3D70070 1DC2157A
	v_mfma_i32_16x16x32_i8 v[112:115], a[124:125], a[12:13], v[112:115]// 00000000A168: D3D70070 1DC2197C
	buffer_load_dword v47, s[20:23], 0 offen lds               // 00000000A170: E0511000 8005002F
	s_add_u32 m0, 0x200, s49                                   // 00000000A178: 807C31FF 00000200
	v_mfma_i32_16x16x32_i8 v[112:115], a[126:127], a[14:15], v[112:115]// 00000000A180: D3D70070 1DC21D7E
	v_mfma_i32_16x16x32_i8 v[68:71], a[96:97], a[16:17], v[68:71]// 00000000A188: D3D70044 1D122160
	buffer_load_dword v48, s[20:23], 0 offen lds               // 00000000A190: E0511000 80050030
	s_add_u32 m0, 0x300, s49                                   // 00000000A198: 807C31FF 00000300
	v_mfma_i32_16x16x32_i8 v[68:71], a[98:99], a[18:19], v[68:71]// 00000000A1A0: D3D70044 1D122562
	v_mfma_i32_16x16x32_i8 v[68:71], a[100:101], a[20:21], v[68:71]// 00000000A1A8: D3D70044 1D122964
	buffer_load_dword v49, s[20:23], 0 offen lds               // 00000000A1B0: E0511000 80050031
	s_add_u32 m0, 0x400, s49                                   // 00000000A1B8: 807C31FF 00000400
	v_mfma_i32_16x16x32_i8 v[68:71], a[102:103], a[22:23], v[68:71]// 00000000A1C0: D3D70044 1D122D66
	v_mfma_i32_16x16x32_i8 v[84:87], a[104:105], a[16:17], v[84:87]// 00000000A1C8: D3D70054 1D522168
	buffer_load_dword v50, s[20:23], 0 offen lds               // 00000000A1D0: E0511000 80050032
	s_add_u32 m0, 0x500, s49                                   // 00000000A1D8: 807C31FF 00000500
	v_mfma_i32_16x16x32_i8 v[84:87], a[106:107], a[18:19], v[84:87]// 00000000A1E0: D3D70054 1D52256A
	v_mfma_i32_16x16x32_i8 v[84:87], a[108:109], a[20:21], v[84:87]// 00000000A1E8: D3D70054 1D52296C
	buffer_load_dword v51, s[20:23], 0 offen lds               // 00000000A1F0: E0511000 80050033
	s_add_u32 m0, 0x600, s49                                   // 00000000A1F8: 807C31FF 00000600
	v_mfma_i32_16x16x32_i8 v[84:87], a[110:111], a[22:23], v[84:87]// 00000000A200: D3D70054 1D522D6E
	v_mfma_i32_16x16x32_i8 v[100:103], a[112:113], a[16:17], v[100:103]// 00000000A208: D3D70064 1D922170
	buffer_load_dword v52, s[20:23], 0 offen lds               // 00000000A210: E0511000 80050034
	s_add_u32 m0, 0x700, s49                                   // 00000000A218: 807C31FF 00000700
	v_mfma_i32_16x16x32_i8 v[100:103], a[114:115], a[18:19], v[100:103]// 00000000A220: D3D70064 1D922572
	v_mfma_i32_16x16x32_i8 v[100:103], a[116:117], a[20:21], v[100:103]// 00000000A228: D3D70064 1D922974
	buffer_load_dword v53, s[20:23], 0 offen lds               // 00000000A230: E0511000 80050035
	s_add_u32 m0, 0, s50                                       // 00000000A238: 807C3280
	v_mfma_i32_16x16x32_i8 v[100:103], a[118:119], a[22:23], v[100:103]// 00000000A23C: D3D70064 1D922D76
	v_mfma_i32_16x16x32_i8 v[116:119], a[120:121], a[16:17], v[116:119]// 00000000A244: D3D70074 1DD22178
	v_mfma_i32_16x16x32_i8 v[116:119], a[122:123], a[18:19], v[116:119]// 00000000A24C: D3D70074 1DD2257A
	v_mfma_i32_16x16x32_i8 v[116:119], a[124:125], a[20:21], v[116:119]// 00000000A254: D3D70074 1DD2297C
	v_mfma_i32_16x16x32_i8 v[116:119], a[126:127], a[22:23], v[116:119]// 00000000A25C: D3D70074 1DD22D7E
	v_mfma_i32_16x16x32_i8 v[72:75], a[96:97], a[24:25], v[72:75]// 00000000A264: D3D70048 1D223160
	v_mfma_i32_16x16x32_i8 v[72:75], a[98:99], a[26:27], v[72:75]// 00000000A26C: D3D70048 1D223562
	v_mfma_i32_16x16x32_i8 v[72:75], a[100:101], a[28:29], v[72:75]// 00000000A274: D3D70048 1D223964
	v_mfma_i32_16x16x32_i8 v[72:75], a[102:103], a[30:31], v[72:75]// 00000000A27C: D3D70048 1D223D66
	v_mfma_i32_16x16x32_i8 v[88:91], a[104:105], a[24:25], v[88:91]// 00000000A284: D3D70058 1D623168
	v_mfma_i32_16x16x32_i8 v[88:91], a[106:107], a[26:27], v[88:91]// 00000000A28C: D3D70058 1D62356A
	v_mfma_i32_16x16x32_i8 v[88:91], a[108:109], a[28:29], v[88:91]// 00000000A294: D3D70058 1D62396C
	v_mfma_i32_16x16x32_i8 v[88:91], a[110:111], a[30:31], v[88:91]// 00000000A29C: D3D70058 1D623D6E
	v_mfma_i32_16x16x32_i8 v[104:107], a[112:113], a[24:25], v[104:107]// 00000000A2A4: D3D70068 1DA23170
	v_mfma_i32_16x16x32_i8 v[104:107], a[114:115], a[26:27], v[104:107]// 00000000A2AC: D3D70068 1DA23572
	v_mfma_i32_16x16x32_i8 v[104:107], a[116:117], a[28:29], v[104:107]// 00000000A2B4: D3D70068 1DA23974
	v_mfma_i32_16x16x32_i8 v[104:107], a[118:119], a[30:31], v[104:107]// 00000000A2BC: D3D70068 1DA23D76
	v_mfma_i32_16x16x32_i8 v[120:123], a[120:121], a[24:25], v[120:123]// 00000000A2C4: D3D70078 1DE23178
	v_mfma_i32_16x16x32_i8 v[120:123], a[122:123], a[26:27], v[120:123]// 00000000A2CC: D3D70078 1DE2357A
	v_mfma_i32_16x16x32_i8 v[120:123], a[124:125], a[28:29], v[120:123]// 00000000A2D4: D3D70078 1DE2397C
	v_mfma_i32_16x16x32_i8 v[120:123], a[126:127], a[30:31], v[120:123]// 00000000A2DC: D3D70078 1DE23D7E
	s_waitcnt vmcnt(16)                                        // 00000000A2E4: BF8C4F70
	s_barrier                                                  // 00000000A2E8: BF8A0000
	v_mfma_i32_16x16x32_i8 v[124:127], a[128:129], a[0:1], v[124:127]// 00000000A2EC: D3D7007C 1DF20180
	buffer_load_dwordx4 a[96:99], v54, s[84:87], 0 offen       // 00000000A2F4: E05C1000 80956036
	v_mfma_i32_16x16x32_i8 v[124:127], a[130:131], a[2:3], v[124:127]// 00000000A2FC: D3D7007C 1DF20582
	v_mfma_i32_16x16x32_i8 v[124:127], a[132:133], a[4:5], v[124:127]// 00000000A304: D3D7007C 1DF20984
	ds_read_b128 a[32:35], v2                                  // 00000000A30C: DBFE0000 20000002
	ds_read_b128 a[36:39], v2 offset:64                        // 00000000A314: DBFE0040 24000002
	v_mfma_i32_16x16x32_i8 v[124:127], a[134:135], a[6:7], v[124:127]// 00000000A31C: D3D7007C 1DF20D86
	v_mfma_i32_16x16x32_i8 v[140:143], a[136:137], a[0:1], v[140:143]// 00000000A324: D3D7008C 1E320188
	buffer_load_dwordx4 a[100:103], v54, s[84:87], 0 offen offset:1024// 00000000A32C: E05C1400 80956436
	v_mfma_i32_16x16x32_i8 v[140:143], a[138:139], a[2:3], v[140:143]// 00000000A334: D3D7008C 1E32058A
	v_mfma_i32_16x16x32_i8 v[140:143], a[140:141], a[4:5], v[140:143]// 00000000A33C: D3D7008C 1E32098C
	ds_read_b128 a[40:43], v2 offset:512                       // 00000000A344: DBFE0200 28000002
	ds_read_b128 a[44:47], v2 offset:576                       // 00000000A34C: DBFE0240 2C000002
	v_mfma_i32_16x16x32_i8 v[140:143], a[142:143], a[6:7], v[140:143]// 00000000A354: D3D7008C 1E320D8E
	v_mfma_i32_16x16x32_i8 v[156:159], a[144:145], a[0:1], v[156:159]// 00000000A35C: D3D7009C 1E720190
	buffer_load_dwordx4 a[104:107], v55, s[84:87], 0 offen     // 00000000A364: E05C1000 80956837
	v_mfma_i32_16x16x32_i8 v[156:159], a[146:147], a[2:3], v[156:159]// 00000000A36C: D3D7009C 1E720592
	v_mfma_i32_16x16x32_i8 v[156:159], a[148:149], a[4:5], v[156:159]// 00000000A374: D3D7009C 1E720994
	ds_read_b128 a[48:51], v2 offset:1024                      // 00000000A37C: DBFE0400 30000002
	ds_read_b128 a[52:55], v2 offset:1088                      // 00000000A384: DBFE0440 34000002
	v_mfma_i32_16x16x32_i8 v[156:159], a[150:151], a[6:7], v[156:159]// 00000000A38C: D3D7009C 1E720D96
	v_mfma_i32_16x16x32_i8 v[172:175], a[152:153], a[0:1], v[172:175]// 00000000A394: D3D700AC 1EB20198
	buffer_load_dwordx4 a[108:111], v55, s[84:87], 0 offen offset:1024// 00000000A39C: E05C1400 80956C37
	v_mfma_i32_16x16x32_i8 v[172:175], a[154:155], a[2:3], v[172:175]// 00000000A3A4: D3D700AC 1EB2059A
	v_mfma_i32_16x16x32_i8 v[172:175], a[156:157], a[4:5], v[172:175]// 00000000A3AC: D3D700AC 1EB2099C
	ds_read_b128 a[56:59], v2 offset:1536                      // 00000000A3B4: DBFE0600 38000002
	ds_read_b128 a[60:63], v2 offset:1600                      // 00000000A3BC: DBFE0640 3C000002
	v_mfma_i32_16x16x32_i8 v[172:175], a[158:159], a[6:7], v[172:175]// 00000000A3C4: D3D700AC 1EB20D9E
	v_mfma_i32_16x16x32_i8 v[128:131], a[128:129], a[8:9], v[128:131]// 00000000A3CC: D3D70080 1E021180
	buffer_load_dwordx4 a[112:115], v56, s[84:87], 0 offen     // 00000000A3D4: E05C1000 80957038
	v_mfma_i32_16x16x32_i8 v[128:131], a[130:131], a[10:11], v[128:131]// 00000000A3DC: D3D70080 1E021582
	v_mfma_i32_16x16x32_i8 v[128:131], a[132:133], a[12:13], v[128:131]// 00000000A3E4: D3D70080 1E021984
	v_mfma_i32_16x16x32_i8 v[128:131], a[134:135], a[14:15], v[128:131]// 00000000A3EC: D3D70080 1E021D86
	v_mfma_i32_16x16x32_i8 v[144:147], a[136:137], a[8:9], v[144:147]// 00000000A3F4: D3D70090 1E421188
	buffer_load_dwordx4 a[116:119], v56, s[84:87], 0 offen offset:1024// 00000000A3FC: E05C1400 80957438
	v_mfma_i32_16x16x32_i8 v[144:147], a[138:139], a[10:11], v[144:147]// 00000000A404: D3D70090 1E42158A
	v_mfma_i32_16x16x32_i8 v[144:147], a[140:141], a[12:13], v[144:147]// 00000000A40C: D3D70090 1E42198C
	v_mfma_i32_16x16x32_i8 v[144:147], a[142:143], a[14:15], v[144:147]// 00000000A414: D3D70090 1E421D8E
	v_mfma_i32_16x16x32_i8 v[160:163], a[144:145], a[8:9], v[160:163]// 00000000A41C: D3D700A0 1E821190
	buffer_load_dwordx4 a[120:123], v57, s[84:87], 0 offen     // 00000000A424: E05C1000 80957839
	v_mfma_i32_16x16x32_i8 v[160:163], a[146:147], a[10:11], v[160:163]// 00000000A42C: D3D700A0 1E821592
	v_mfma_i32_16x16x32_i8 v[160:163], a[148:149], a[12:13], v[160:163]// 00000000A434: D3D700A0 1E821994
	v_mfma_i32_16x16x32_i8 v[160:163], a[150:151], a[14:15], v[160:163]// 00000000A43C: D3D700A0 1E821D96
	v_mfma_i32_16x16x32_i8 v[176:179], a[152:153], a[8:9], v[176:179]// 00000000A444: D3D700B0 1EC21198
	buffer_load_dwordx4 a[124:127], v57, s[84:87], 0 offen offset:1024// 00000000A44C: E05C1400 80957C39
	v_mfma_i32_16x16x32_i8 v[176:179], a[154:155], a[10:11], v[176:179]// 00000000A454: D3D700B0 1EC2159A
	v_mfma_i32_16x16x32_i8 v[176:179], a[156:157], a[12:13], v[176:179]// 00000000A45C: D3D700B0 1EC2199C
	v_mfma_i32_16x16x32_i8 v[176:179], a[158:159], a[14:15], v[176:179]// 00000000A464: D3D700B0 1EC21D9E
	v_mfma_i32_16x16x32_i8 v[132:135], a[128:129], a[16:17], v[132:135]// 00000000A46C: D3D70084 1E122180
	v_mfma_i32_16x16x32_i8 v[132:135], a[130:131], a[18:19], v[132:135]// 00000000A474: D3D70084 1E122582
	v_mfma_i32_16x16x32_i8 v[132:135], a[132:133], a[20:21], v[132:135]// 00000000A47C: D3D70084 1E122984
	v_mfma_i32_16x16x32_i8 v[132:135], a[134:135], a[22:23], v[132:135]// 00000000A484: D3D70084 1E122D86
	v_mfma_i32_16x16x32_i8 v[148:151], a[136:137], a[16:17], v[148:151]// 00000000A48C: D3D70094 1E522188
	v_mfma_i32_16x16x32_i8 v[148:151], a[138:139], a[18:19], v[148:151]// 00000000A494: D3D70094 1E52258A
	v_mfma_i32_16x16x32_i8 v[148:151], a[140:141], a[20:21], v[148:151]// 00000000A49C: D3D70094 1E52298C
	v_mfma_i32_16x16x32_i8 v[148:151], a[142:143], a[22:23], v[148:151]// 00000000A4A4: D3D70094 1E522D8E
	v_mfma_i32_16x16x32_i8 v[164:167], a[144:145], a[16:17], v[164:167]// 00000000A4AC: D3D700A4 1E922190
	v_mfma_i32_16x16x32_i8 v[164:167], a[146:147], a[18:19], v[164:167]// 00000000A4B4: D3D700A4 1E922592
	v_mfma_i32_16x16x32_i8 v[164:167], a[148:149], a[20:21], v[164:167]// 00000000A4BC: D3D700A4 1E922994
	v_mfma_i32_16x16x32_i8 v[164:167], a[150:151], a[22:23], v[164:167]// 00000000A4C4: D3D700A4 1E922D96
	v_mfma_i32_16x16x32_i8 v[180:183], a[152:153], a[16:17], v[180:183]// 00000000A4CC: D3D700B4 1ED22198
	v_mfma_i32_16x16x32_i8 v[180:183], a[154:155], a[18:19], v[180:183]// 00000000A4D4: D3D700B4 1ED2259A
	v_mfma_i32_16x16x32_i8 v[180:183], a[156:157], a[20:21], v[180:183]// 00000000A4DC: D3D700B4 1ED2299C
	v_mfma_i32_16x16x32_i8 v[180:183], a[158:159], a[22:23], v[180:183]// 00000000A4E4: D3D700B4 1ED22D9E
	v_mfma_i32_16x16x32_i8 v[136:139], a[128:129], a[24:25], v[136:139]// 00000000A4EC: D3D70088 1E223180
	v_mfma_i32_16x16x32_i8 v[136:139], a[130:131], a[26:27], v[136:139]// 00000000A4F4: D3D70088 1E223582
	v_mfma_i32_16x16x32_i8 v[136:139], a[132:133], a[28:29], v[136:139]// 00000000A4FC: D3D70088 1E223984
	v_mfma_i32_16x16x32_i8 v[136:139], a[134:135], a[30:31], v[136:139]// 00000000A504: D3D70088 1E223D86
	v_mfma_i32_16x16x32_i8 v[152:155], a[136:137], a[24:25], v[152:155]// 00000000A50C: D3D70098 1E623188
	v_mfma_i32_16x16x32_i8 v[152:155], a[138:139], a[26:27], v[152:155]// 00000000A514: D3D70098 1E62358A
	v_mfma_i32_16x16x32_i8 v[152:155], a[140:141], a[28:29], v[152:155]// 00000000A51C: D3D70098 1E62398C
	v_mfma_i32_16x16x32_i8 v[152:155], a[142:143], a[30:31], v[152:155]// 00000000A524: D3D70098 1E623D8E
	v_mfma_i32_16x16x32_i8 v[168:171], a[144:145], a[24:25], v[168:171]// 00000000A52C: D3D700A8 1EA23190
	s_add_u32 s60, 0x180, s80                                  // 00000000A534: 803C50FF 00000180
	s_cmp_lt_u32 s60, s81                                      // 00000000A53C: BF0A513C
	s_cselect_b32 s57, s57, 0                                  // 00000000A540: 85398039
	v_mfma_i32_16x16x32_i8 v[168:171], a[146:147], a[26:27], v[168:171]// 00000000A544: D3D700A8 1EA23592
	s_add_u32 s60, 0x100, s80                                  // 00000000A54C: 803C50FF 00000100
	s_cmp_lt_u32 s60, s81                                      // 00000000A554: BF0A513C
	s_cselect_b32 s58, s58, 0                                  // 00000000A558: 853A803A
	v_mfma_i32_16x16x32_i8 v[168:171], a[148:149], a[28:29], v[168:171]// 00000000A55C: D3D700A8 1EA23994
	s_add_u32 s60, 0x100, s80                                  // 00000000A564: 803C50FF 00000100
	s_cmp_lt_u32 s60, s81                                      // 00000000A56C: BF0A513C
	s_cselect_b32 s83, s83, 0                                  // 00000000A570: 85538053
	v_mfma_i32_16x16x32_i8 v[168:171], a[150:151], a[30:31], v[168:171]// 00000000A574: D3D700A8 1EA23D96
	s_add_u32 s24, s58, s24                                    // 00000000A57C: 8018183A
	s_addc_u32 s25, 0, s25                                     // 00000000A580: 82191980
	v_mfma_i32_16x16x32_i8 v[184:187], a[152:153], a[24:25], v[184:187]// 00000000A584: D3D700B8 1EE23198
	s_add_u32 s20, s57, s20                                    // 00000000A58C: 80141439
	s_addc_u32 s21, 0, s21                                     // 00000000A590: 82151580
	v_mfma_i32_16x16x32_i8 v[184:187], a[154:155], a[26:27], v[184:187]// 00000000A594: D3D700B8 1EE2359A
	s_add_u32 s84, s83, s84                                    // 00000000A59C: 80545453
	s_addc_u32 s85, 0, s85                                     // 00000000A5A0: 82555580
	v_mfma_i32_16x16x32_i8 v[184:187], a[156:157], a[28:29], v[184:187]// 00000000A5A4: D3D700B8 1EE2399C
	v_mfma_i32_16x16x32_i8 v[184:187], a[158:159], a[30:31], v[184:187]// 00000000A5AC: D3D700B8 1EE23D9E
	s_addk_i32 s80, 0x80                                       // 00000000A5B4: B7500080
	s_cmp_lt_i32 s80, s81                                      // 00000000A5B8: BF045150
	s_cbranch_scc0 label_2329                                  // 00000000A5BC: BF840436
	s_waitcnt vmcnt(16) lgkmcnt(0)                             // 00000000A5C0: BF8C4070
	v_mfma_i32_16x16x32_i8 v[60:63], a[64:65], a[32:33], v[60:63]// 00000000A5C4: D3D7003C 1CF24140
	buffer_load_dwordx4 a[128:131], v54, s[24:27], 0 offen     // 00000000A5CC: E05C1000 80868036
	v_mfma_i32_16x16x32_i8 v[60:63], a[66:67], a[34:35], v[60:63]// 00000000A5D4: D3D7003C 1CF24542
	v_mfma_i32_16x16x32_i8 v[60:63], a[68:69], a[36:37], v[60:63]// 00000000A5DC: D3D7003C 1CF24944
	v_mfma_i32_16x16x32_i8 v[60:63], a[70:71], a[38:39], v[60:63]// 00000000A5E4: D3D7003C 1CF24D46
	v_mfma_i32_16x16x32_i8 v[76:79], a[72:73], a[32:33], v[76:79]// 00000000A5EC: D3D7004C 1D324148
	buffer_load_dwordx4 a[132:135], v54, s[24:27], 0 offen offset:1024// 00000000A5F4: E05C1400 80868436
	v_mfma_i32_16x16x32_i8 v[76:79], a[74:75], a[34:35], v[76:79]// 00000000A5FC: D3D7004C 1D32454A
	v_mfma_i32_16x16x32_i8 v[76:79], a[76:77], a[36:37], v[76:79]// 00000000A604: D3D7004C 1D32494C
	v_mfma_i32_16x16x32_i8 v[76:79], a[78:79], a[38:39], v[76:79]// 00000000A60C: D3D7004C 1D324D4E
	v_mfma_i32_16x16x32_i8 v[92:95], a[80:81], a[32:33], v[92:95]// 00000000A614: D3D7005C 1D724150
	buffer_load_dwordx4 a[136:139], v55, s[24:27], 0 offen     // 00000000A61C: E05C1000 80868837
	v_mfma_i32_16x16x32_i8 v[92:95], a[82:83], a[34:35], v[92:95]// 00000000A624: D3D7005C 1D724552
	v_mfma_i32_16x16x32_i8 v[92:95], a[84:85], a[36:37], v[92:95]// 00000000A62C: D3D7005C 1D724954
	v_mfma_i32_16x16x32_i8 v[92:95], a[86:87], a[38:39], v[92:95]// 00000000A634: D3D7005C 1D724D56
	v_mfma_i32_16x16x32_i8 v[108:111], a[88:89], a[32:33], v[108:111]// 00000000A63C: D3D7006C 1DB24158
	buffer_load_dwordx4 a[140:143], v55, s[24:27], 0 offen offset:1024// 00000000A644: E05C1400 80868C37
	v_mfma_i32_16x16x32_i8 v[108:111], a[90:91], a[34:35], v[108:111]// 00000000A64C: D3D7006C 1DB2455A
	v_mfma_i32_16x16x32_i8 v[108:111], a[92:93], a[36:37], v[108:111]// 00000000A654: D3D7006C 1DB2495C
	v_mfma_i32_16x16x32_i8 v[108:111], a[94:95], a[38:39], v[108:111]// 00000000A65C: D3D7006C 1DB24D5E
	v_mfma_i32_16x16x32_i8 v[64:67], a[64:65], a[40:41], v[64:67]// 00000000A664: D3D70040 1D025140
	buffer_load_dwordx4 a[144:147], v56, s[24:27], 0 offen     // 00000000A66C: E05C1000 80869038
	v_mfma_i32_16x16x32_i8 v[64:67], a[66:67], a[42:43], v[64:67]// 00000000A674: D3D70040 1D025542
	v_mfma_i32_16x16x32_i8 v[64:67], a[68:69], a[44:45], v[64:67]// 00000000A67C: D3D70040 1D025944
	v_mfma_i32_16x16x32_i8 v[64:67], a[70:71], a[46:47], v[64:67]// 00000000A684: D3D70040 1D025D46
	v_mfma_i32_16x16x32_i8 v[80:83], a[72:73], a[40:41], v[80:83]// 00000000A68C: D3D70050 1D425148
	buffer_load_dwordx4 a[148:151], v56, s[24:27], 0 offen offset:1024// 00000000A694: E05C1400 80869438
	v_mfma_i32_16x16x32_i8 v[80:83], a[74:75], a[42:43], v[80:83]// 00000000A69C: D3D70050 1D42554A
	v_mfma_i32_16x16x32_i8 v[80:83], a[76:77], a[44:45], v[80:83]// 00000000A6A4: D3D70050 1D42594C
	v_mfma_i32_16x16x32_i8 v[80:83], a[78:79], a[46:47], v[80:83]// 00000000A6AC: D3D70050 1D425D4E
	v_mfma_i32_16x16x32_i8 v[96:99], a[80:81], a[40:41], v[96:99]// 00000000A6B4: D3D70060 1D825150
	buffer_load_dwordx4 a[152:155], v57, s[24:27], 0 offen     // 00000000A6BC: E05C1000 80869839
	v_mfma_i32_16x16x32_i8 v[96:99], a[82:83], a[42:43], v[96:99]// 00000000A6C4: D3D70060 1D825552
	v_mfma_i32_16x16x32_i8 v[96:99], a[84:85], a[44:45], v[96:99]// 00000000A6CC: D3D70060 1D825954
	v_mfma_i32_16x16x32_i8 v[96:99], a[86:87], a[46:47], v[96:99]// 00000000A6D4: D3D70060 1D825D56
	v_mfma_i32_16x16x32_i8 v[112:115], a[88:89], a[40:41], v[112:115]// 00000000A6DC: D3D70070 1DC25158
	buffer_load_dwordx4 a[156:159], v57, s[24:27], 0 offen offset:1024// 00000000A6E4: E05C1400 80869C39
	buffer_load_dword v46, s[20:23], 0 offen lds               // 00000000A6EC: E0511000 8005002E
	s_add_u32 m0, 0x100, s50                                   // 00000000A6F4: 807C32FF 00000100
	v_mfma_i32_16x16x32_i8 v[112:115], a[90:91], a[42:43], v[112:115]// 00000000A6FC: D3D70070 1DC2555A
	v_mfma_i32_16x16x32_i8 v[112:115], a[92:93], a[44:45], v[112:115]// 00000000A704: D3D70070 1DC2595C
	buffer_load_dword v47, s[20:23], 0 offen lds               // 00000000A70C: E0511000 8005002F
	s_add_u32 m0, 0x200, s50                                   // 00000000A714: 807C32FF 00000200
	v_mfma_i32_16x16x32_i8 v[112:115], a[94:95], a[46:47], v[112:115]// 00000000A71C: D3D70070 1DC25D5E
	v_mfma_i32_16x16x32_i8 v[68:71], a[64:65], a[48:49], v[68:71]// 00000000A724: D3D70044 1D126140
	buffer_load_dword v48, s[20:23], 0 offen lds               // 00000000A72C: E0511000 80050030
	s_add_u32 m0, 0x300, s50                                   // 00000000A734: 807C32FF 00000300
	v_mfma_i32_16x16x32_i8 v[68:71], a[66:67], a[50:51], v[68:71]// 00000000A73C: D3D70044 1D126542
	v_mfma_i32_16x16x32_i8 v[68:71], a[68:69], a[52:53], v[68:71]// 00000000A744: D3D70044 1D126944
	buffer_load_dword v49, s[20:23], 0 offen lds               // 00000000A74C: E0511000 80050031
	s_add_u32 m0, 0x400, s50                                   // 00000000A754: 807C32FF 00000400
	v_mfma_i32_16x16x32_i8 v[68:71], a[70:71], a[54:55], v[68:71]// 00000000A75C: D3D70044 1D126D46
	v_mfma_i32_16x16x32_i8 v[84:87], a[72:73], a[48:49], v[84:87]// 00000000A764: D3D70054 1D526148
	buffer_load_dword v50, s[20:23], 0 offen lds               // 00000000A76C: E0511000 80050032
	s_add_u32 m0, 0x500, s50                                   // 00000000A774: 807C32FF 00000500
	v_mfma_i32_16x16x32_i8 v[84:87], a[74:75], a[50:51], v[84:87]// 00000000A77C: D3D70054 1D52654A
	v_mfma_i32_16x16x32_i8 v[84:87], a[76:77], a[52:53], v[84:87]// 00000000A784: D3D70054 1D52694C
	buffer_load_dword v51, s[20:23], 0 offen lds               // 00000000A78C: E0511000 80050033
	s_add_u32 m0, 0x600, s50                                   // 00000000A794: 807C32FF 00000600
	v_mfma_i32_16x16x32_i8 v[84:87], a[78:79], a[54:55], v[84:87]// 00000000A79C: D3D70054 1D526D4E
	v_mfma_i32_16x16x32_i8 v[100:103], a[80:81], a[48:49], v[100:103]// 00000000A7A4: D3D70064 1D926150
	buffer_load_dword v52, s[20:23], 0 offen lds               // 00000000A7AC: E0511000 80050034
	s_add_u32 m0, 0x700, s50                                   // 00000000A7B4: 807C32FF 00000700
	v_mfma_i32_16x16x32_i8 v[100:103], a[82:83], a[50:51], v[100:103]// 00000000A7BC: D3D70064 1D926552
	v_mfma_i32_16x16x32_i8 v[100:103], a[84:85], a[52:53], v[100:103]// 00000000A7C4: D3D70064 1D926954
	buffer_load_dword v53, s[20:23], 0 offen lds               // 00000000A7CC: E0511000 80050035
	s_add_u32 m0, 0, s48                                       // 00000000A7D4: 807C3080
	v_mfma_i32_16x16x32_i8 v[100:103], a[86:87], a[54:55], v[100:103]// 00000000A7D8: D3D70064 1D926D56
	v_mfma_i32_16x16x32_i8 v[116:119], a[88:89], a[48:49], v[116:119]// 00000000A7E0: D3D70074 1DD26158
	v_mfma_i32_16x16x32_i8 v[116:119], a[90:91], a[50:51], v[116:119]// 00000000A7E8: D3D70074 1DD2655A
	v_mfma_i32_16x16x32_i8 v[116:119], a[92:93], a[52:53], v[116:119]// 00000000A7F0: D3D70074 1DD2695C
	v_mfma_i32_16x16x32_i8 v[116:119], a[94:95], a[54:55], v[116:119]// 00000000A7F8: D3D70074 1DD26D5E
	v_mfma_i32_16x16x32_i8 v[72:75], a[64:65], a[56:57], v[72:75]// 00000000A800: D3D70048 1D227140
	v_mfma_i32_16x16x32_i8 v[72:75], a[66:67], a[58:59], v[72:75]// 00000000A808: D3D70048 1D227542
	v_mfma_i32_16x16x32_i8 v[72:75], a[68:69], a[60:61], v[72:75]// 00000000A810: D3D70048 1D227944
	v_mfma_i32_16x16x32_i8 v[72:75], a[70:71], a[62:63], v[72:75]// 00000000A818: D3D70048 1D227D46
	v_mfma_i32_16x16x32_i8 v[88:91], a[72:73], a[56:57], v[88:91]// 00000000A820: D3D70058 1D627148
	v_mfma_i32_16x16x32_i8 v[88:91], a[74:75], a[58:59], v[88:91]// 00000000A828: D3D70058 1D62754A
	v_mfma_i32_16x16x32_i8 v[88:91], a[76:77], a[60:61], v[88:91]// 00000000A830: D3D70058 1D62794C
	v_mfma_i32_16x16x32_i8 v[88:91], a[78:79], a[62:63], v[88:91]// 00000000A838: D3D70058 1D627D4E
	v_mfma_i32_16x16x32_i8 v[104:107], a[80:81], a[56:57], v[104:107]// 00000000A840: D3D70068 1DA27150
	v_mfma_i32_16x16x32_i8 v[104:107], a[82:83], a[58:59], v[104:107]// 00000000A848: D3D70068 1DA27552
	v_mfma_i32_16x16x32_i8 v[104:107], a[84:85], a[60:61], v[104:107]// 00000000A850: D3D70068 1DA27954
	v_mfma_i32_16x16x32_i8 v[104:107], a[86:87], a[62:63], v[104:107]// 00000000A858: D3D70068 1DA27D56
	v_mfma_i32_16x16x32_i8 v[120:123], a[88:89], a[56:57], v[120:123]// 00000000A860: D3D70078 1DE27158
	v_mfma_i32_16x16x32_i8 v[120:123], a[90:91], a[58:59], v[120:123]// 00000000A868: D3D70078 1DE2755A
	v_mfma_i32_16x16x32_i8 v[120:123], a[92:93], a[60:61], v[120:123]// 00000000A870: D3D70078 1DE2795C
	v_mfma_i32_16x16x32_i8 v[120:123], a[94:95], a[62:63], v[120:123]// 00000000A878: D3D70078 1DE27D5E
	s_waitcnt vmcnt(16)                                        // 00000000A880: BF8C4F70
	s_barrier                                                  // 00000000A884: BF8A0000
	v_mfma_i32_16x16x32_i8 v[124:127], a[96:97], a[32:33], v[124:127]// 00000000A888: D3D7007C 1DF24160
	buffer_load_dwordx4 a[64:67], v54, s[84:87], 0 offen       // 00000000A890: E05C1000 80954036
	v_mfma_i32_16x16x32_i8 v[124:127], a[98:99], a[34:35], v[124:127]// 00000000A898: D3D7007C 1DF24562
	v_mfma_i32_16x16x32_i8 v[124:127], a[100:101], a[36:37], v[124:127]// 00000000A8A0: D3D7007C 1DF24964
	ds_read_b128 a[0:3], v2 offset:8320                        // 00000000A8A8: DBFE2080 00000002
	ds_read_b128 a[4:7], v2 offset:8384                        // 00000000A8B0: DBFE20C0 04000002
	v_mfma_i32_16x16x32_i8 v[124:127], a[102:103], a[38:39], v[124:127]// 00000000A8B8: D3D7007C 1DF24D66
	v_mfma_i32_16x16x32_i8 v[140:143], a[104:105], a[32:33], v[140:143]// 00000000A8C0: D3D7008C 1E324168
	buffer_load_dwordx4 a[68:71], v54, s[84:87], 0 offen offset:1024// 00000000A8C8: E05C1400 80954436
	v_mfma_i32_16x16x32_i8 v[140:143], a[106:107], a[34:35], v[140:143]// 00000000A8D0: D3D7008C 1E32456A
	v_mfma_i32_16x16x32_i8 v[140:143], a[108:109], a[36:37], v[140:143]// 00000000A8D8: D3D7008C 1E32496C
	ds_read_b128 a[8:11], v2 offset:8832                       // 00000000A8E0: DBFE2280 08000002
	ds_read_b128 a[12:15], v2 offset:8896                      // 00000000A8E8: DBFE22C0 0C000002
	v_mfma_i32_16x16x32_i8 v[140:143], a[110:111], a[38:39], v[140:143]// 00000000A8F0: D3D7008C 1E324D6E
	v_mfma_i32_16x16x32_i8 v[156:159], a[112:113], a[32:33], v[156:159]// 00000000A8F8: D3D7009C 1E724170
	buffer_load_dwordx4 a[72:75], v55, s[84:87], 0 offen       // 00000000A900: E05C1000 80954837
	v_mfma_i32_16x16x32_i8 v[156:159], a[114:115], a[34:35], v[156:159]// 00000000A908: D3D7009C 1E724572
	v_mfma_i32_16x16x32_i8 v[156:159], a[116:117], a[36:37], v[156:159]// 00000000A910: D3D7009C 1E724974
	ds_read_b128 a[16:19], v2 offset:9344                      // 00000000A918: DBFE2480 10000002
	ds_read_b128 a[20:23], v2 offset:9408                      // 00000000A920: DBFE24C0 14000002
	v_mfma_i32_16x16x32_i8 v[156:159], a[118:119], a[38:39], v[156:159]// 00000000A928: D3D7009C 1E724D76
	v_mfma_i32_16x16x32_i8 v[172:175], a[120:121], a[32:33], v[172:175]// 00000000A930: D3D700AC 1EB24178
	buffer_load_dwordx4 a[76:79], v55, s[84:87], 0 offen offset:1024// 00000000A938: E05C1400 80954C37
	v_mfma_i32_16x16x32_i8 v[172:175], a[122:123], a[34:35], v[172:175]// 00000000A940: D3D700AC 1EB2457A
	v_mfma_i32_16x16x32_i8 v[172:175], a[124:125], a[36:37], v[172:175]// 00000000A948: D3D700AC 1EB2497C
	ds_read_b128 a[24:27], v2 offset:9856                      // 00000000A950: DBFE2680 18000002
	ds_read_b128 a[28:31], v2 offset:9920                      // 00000000A958: DBFE26C0 1C000002
	v_mfma_i32_16x16x32_i8 v[172:175], a[126:127], a[38:39], v[172:175]// 00000000A960: D3D700AC 1EB24D7E
	v_mfma_i32_16x16x32_i8 v[128:131], a[96:97], a[40:41], v[128:131]// 00000000A968: D3D70080 1E025160
	buffer_load_dwordx4 a[80:83], v56, s[84:87], 0 offen       // 00000000A970: E05C1000 80955038
	v_mfma_i32_16x16x32_i8 v[128:131], a[98:99], a[42:43], v[128:131]// 00000000A978: D3D70080 1E025562
	v_mfma_i32_16x16x32_i8 v[128:131], a[100:101], a[44:45], v[128:131]// 00000000A980: D3D70080 1E025964
	v_mfma_i32_16x16x32_i8 v[128:131], a[102:103], a[46:47], v[128:131]// 00000000A988: D3D70080 1E025D66
	v_mfma_i32_16x16x32_i8 v[144:147], a[104:105], a[40:41], v[144:147]// 00000000A990: D3D70090 1E425168
	buffer_load_dwordx4 a[84:87], v56, s[84:87], 0 offen offset:1024// 00000000A998: E05C1400 80955438
	v_mfma_i32_16x16x32_i8 v[144:147], a[106:107], a[42:43], v[144:147]// 00000000A9A0: D3D70090 1E42556A
	v_mfma_i32_16x16x32_i8 v[144:147], a[108:109], a[44:45], v[144:147]// 00000000A9A8: D3D70090 1E42596C
	v_mfma_i32_16x16x32_i8 v[144:147], a[110:111], a[46:47], v[144:147]// 00000000A9B0: D3D70090 1E425D6E
	v_mfma_i32_16x16x32_i8 v[160:163], a[112:113], a[40:41], v[160:163]// 00000000A9B8: D3D700A0 1E825170
	buffer_load_dwordx4 a[88:91], v57, s[84:87], 0 offen       // 00000000A9C0: E05C1000 80955839
	v_mfma_i32_16x16x32_i8 v[160:163], a[114:115], a[42:43], v[160:163]// 00000000A9C8: D3D700A0 1E825572
	v_mfma_i32_16x16x32_i8 v[160:163], a[116:117], a[44:45], v[160:163]// 00000000A9D0: D3D700A0 1E825974
	v_mfma_i32_16x16x32_i8 v[160:163], a[118:119], a[46:47], v[160:163]// 00000000A9D8: D3D700A0 1E825D76
	v_mfma_i32_16x16x32_i8 v[176:179], a[120:121], a[40:41], v[176:179]// 00000000A9E0: D3D700B0 1EC25178
	buffer_load_dwordx4 a[92:95], v57, s[84:87], 0 offen offset:1024// 00000000A9E8: E05C1400 80955C39
	v_mfma_i32_16x16x32_i8 v[176:179], a[122:123], a[42:43], v[176:179]// 00000000A9F0: D3D700B0 1EC2557A
	v_mfma_i32_16x16x32_i8 v[176:179], a[124:125], a[44:45], v[176:179]// 00000000A9F8: D3D700B0 1EC2597C
	v_mfma_i32_16x16x32_i8 v[176:179], a[126:127], a[46:47], v[176:179]// 00000000AA00: D3D700B0 1EC25D7E
	v_mfma_i32_16x16x32_i8 v[132:135], a[96:97], a[48:49], v[132:135]// 00000000AA08: D3D70084 1E126160
	v_mfma_i32_16x16x32_i8 v[132:135], a[98:99], a[50:51], v[132:135]// 00000000AA10: D3D70084 1E126562
	v_mfma_i32_16x16x32_i8 v[132:135], a[100:101], a[52:53], v[132:135]// 00000000AA18: D3D70084 1E126964
	v_mfma_i32_16x16x32_i8 v[132:135], a[102:103], a[54:55], v[132:135]// 00000000AA20: D3D70084 1E126D66
	v_mfma_i32_16x16x32_i8 v[148:151], a[104:105], a[48:49], v[148:151]// 00000000AA28: D3D70094 1E526168
	v_mfma_i32_16x16x32_i8 v[148:151], a[106:107], a[50:51], v[148:151]// 00000000AA30: D3D70094 1E52656A
	v_mfma_i32_16x16x32_i8 v[148:151], a[108:109], a[52:53], v[148:151]// 00000000AA38: D3D70094 1E52696C
	v_mfma_i32_16x16x32_i8 v[148:151], a[110:111], a[54:55], v[148:151]// 00000000AA40: D3D70094 1E526D6E
	v_mfma_i32_16x16x32_i8 v[164:167], a[112:113], a[48:49], v[164:167]// 00000000AA48: D3D700A4 1E926170
	v_mfma_i32_16x16x32_i8 v[164:167], a[114:115], a[50:51], v[164:167]// 00000000AA50: D3D700A4 1E926572
	v_mfma_i32_16x16x32_i8 v[164:167], a[116:117], a[52:53], v[164:167]// 00000000AA58: D3D700A4 1E926974
	v_mfma_i32_16x16x32_i8 v[164:167], a[118:119], a[54:55], v[164:167]// 00000000AA60: D3D700A4 1E926D76
	v_mfma_i32_16x16x32_i8 v[180:183], a[120:121], a[48:49], v[180:183]// 00000000AA68: D3D700B4 1ED26178
	v_mfma_i32_16x16x32_i8 v[180:183], a[122:123], a[50:51], v[180:183]// 00000000AA70: D3D700B4 1ED2657A
	v_mfma_i32_16x16x32_i8 v[180:183], a[124:125], a[52:53], v[180:183]// 00000000AA78: D3D700B4 1ED2697C
	v_mfma_i32_16x16x32_i8 v[180:183], a[126:127], a[54:55], v[180:183]// 00000000AA80: D3D700B4 1ED26D7E
	v_mfma_i32_16x16x32_i8 v[136:139], a[96:97], a[56:57], v[136:139]// 00000000AA88: D3D70088 1E227160
	v_mfma_i32_16x16x32_i8 v[136:139], a[98:99], a[58:59], v[136:139]// 00000000AA90: D3D70088 1E227562
	v_mfma_i32_16x16x32_i8 v[136:139], a[100:101], a[60:61], v[136:139]// 00000000AA98: D3D70088 1E227964
	v_mfma_i32_16x16x32_i8 v[136:139], a[102:103], a[62:63], v[136:139]// 00000000AAA0: D3D70088 1E227D66
	v_mfma_i32_16x16x32_i8 v[152:155], a[104:105], a[56:57], v[152:155]// 00000000AAA8: D3D70098 1E627168
	v_mfma_i32_16x16x32_i8 v[152:155], a[106:107], a[58:59], v[152:155]// 00000000AAB0: D3D70098 1E62756A
	v_mfma_i32_16x16x32_i8 v[152:155], a[108:109], a[60:61], v[152:155]// 00000000AAB8: D3D70098 1E62796C
	v_mfma_i32_16x16x32_i8 v[152:155], a[110:111], a[62:63], v[152:155]// 00000000AAC0: D3D70098 1E627D6E
	v_mfma_i32_16x16x32_i8 v[168:171], a[112:113], a[56:57], v[168:171]// 00000000AAC8: D3D700A8 1EA27170
	s_add_u32 s60, 0x180, s80                                  // 00000000AAD0: 803C50FF 00000180
	s_cmp_lt_u32 s60, s81                                      // 00000000AAD8: BF0A513C
	s_cselect_b32 s57, s57, 0                                  // 00000000AADC: 85398039
	v_mfma_i32_16x16x32_i8 v[168:171], a[114:115], a[58:59], v[168:171]// 00000000AAE0: D3D700A8 1EA27572
	s_add_u32 s60, 0x100, s80                                  // 00000000AAE8: 803C50FF 00000100
	s_cmp_lt_u32 s60, s81                                      // 00000000AAF0: BF0A513C
	s_cselect_b32 s58, s58, 0                                  // 00000000AAF4: 853A803A
	v_mfma_i32_16x16x32_i8 v[168:171], a[116:117], a[60:61], v[168:171]// 00000000AAF8: D3D700A8 1EA27974
	s_add_u32 s60, 0x100, s80                                  // 00000000AB00: 803C50FF 00000100
	s_cmp_lt_u32 s60, s81                                      // 00000000AB08: BF0A513C
	s_cselect_b32 s83, s83, 0                                  // 00000000AB0C: 85538053
	v_mfma_i32_16x16x32_i8 v[168:171], a[118:119], a[62:63], v[168:171]// 00000000AB10: D3D700A8 1EA27D76
	s_add_u32 s24, s58, s24                                    // 00000000AB18: 8018183A
	s_addc_u32 s25, 0, s25                                     // 00000000AB1C: 82191980
	v_mfma_i32_16x16x32_i8 v[184:187], a[120:121], a[56:57], v[184:187]// 00000000AB20: D3D700B8 1EE27178
	s_add_u32 s20, s57, s20                                    // 00000000AB28: 80141439
	s_addc_u32 s21, 0, s21                                     // 00000000AB2C: 82151580
	v_mfma_i32_16x16x32_i8 v[184:187], a[122:123], a[58:59], v[184:187]// 00000000AB30: D3D700B8 1EE2757A
	s_add_u32 s84, s83, s84                                    // 00000000AB38: 80545453
	s_addc_u32 s85, 0, s85                                     // 00000000AB3C: 82555580
	v_mfma_i32_16x16x32_i8 v[184:187], a[124:125], a[60:61], v[184:187]// 00000000AB40: D3D700B8 1EE2797C
	v_mfma_i32_16x16x32_i8 v[184:187], a[126:127], a[62:63], v[184:187]// 00000000AB48: D3D700B8 1EE27D7E
	s_addk_i32 s80, 0x80                                       // 00000000AB50: B7500080
	s_cmp_lt_i32 s80, s81                                      // 00000000AB54: BF045150
	s_cbranch_scc0 label_2329                                  // 00000000AB58: BF8402CF
	s_waitcnt vmcnt(16) lgkmcnt(0)                             // 00000000AB5C: BF8C4070
	v_mfma_i32_16x16x32_i8 v[60:63], a[128:129], a[0:1], v[60:63]// 00000000AB60: D3D7003C 1CF20180
	buffer_load_dwordx4 a[96:99], v54, s[24:27], 0 offen       // 00000000AB68: E05C1000 80866036
	v_mfma_i32_16x16x32_i8 v[60:63], a[130:131], a[2:3], v[60:63]// 00000000AB70: D3D7003C 1CF20582
	v_mfma_i32_16x16x32_i8 v[60:63], a[132:133], a[4:5], v[60:63]// 00000000AB78: D3D7003C 1CF20984
	v_mfma_i32_16x16x32_i8 v[60:63], a[134:135], a[6:7], v[60:63]// 00000000AB80: D3D7003C 1CF20D86
	v_mfma_i32_16x16x32_i8 v[76:79], a[136:137], a[0:1], v[76:79]// 00000000AB88: D3D7004C 1D320188
	buffer_load_dwordx4 a[100:103], v54, s[24:27], 0 offen offset:1024// 00000000AB90: E05C1400 80866436
	v_mfma_i32_16x16x32_i8 v[76:79], a[138:139], a[2:3], v[76:79]// 00000000AB98: D3D7004C 1D32058A
	v_mfma_i32_16x16x32_i8 v[76:79], a[140:141], a[4:5], v[76:79]// 00000000ABA0: D3D7004C 1D32098C
	v_mfma_i32_16x16x32_i8 v[76:79], a[142:143], a[6:7], v[76:79]// 00000000ABA8: D3D7004C 1D320D8E
	v_mfma_i32_16x16x32_i8 v[92:95], a[144:145], a[0:1], v[92:95]// 00000000ABB0: D3D7005C 1D720190
	buffer_load_dwordx4 a[104:107], v55, s[24:27], 0 offen     // 00000000ABB8: E05C1000 80866837
	v_mfma_i32_16x16x32_i8 v[92:95], a[146:147], a[2:3], v[92:95]// 00000000ABC0: D3D7005C 1D720592
	v_mfma_i32_16x16x32_i8 v[92:95], a[148:149], a[4:5], v[92:95]// 00000000ABC8: D3D7005C 1D720994
	v_mfma_i32_16x16x32_i8 v[92:95], a[150:151], a[6:7], v[92:95]// 00000000ABD0: D3D7005C 1D720D96
	v_mfma_i32_16x16x32_i8 v[108:111], a[152:153], a[0:1], v[108:111]// 00000000ABD8: D3D7006C 1DB20198
	buffer_load_dwordx4 a[108:111], v55, s[24:27], 0 offen offset:1024// 00000000ABE0: E05C1400 80866C37
	v_mfma_i32_16x16x32_i8 v[108:111], a[154:155], a[2:3], v[108:111]// 00000000ABE8: D3D7006C 1DB2059A
	v_mfma_i32_16x16x32_i8 v[108:111], a[156:157], a[4:5], v[108:111]// 00000000ABF0: D3D7006C 1DB2099C
	v_mfma_i32_16x16x32_i8 v[108:111], a[158:159], a[6:7], v[108:111]// 00000000ABF8: D3D7006C 1DB20D9E
	v_mfma_i32_16x16x32_i8 v[64:67], a[128:129], a[8:9], v[64:67]// 00000000AC00: D3D70040 1D021180
	buffer_load_dwordx4 a[112:115], v56, s[24:27], 0 offen     // 00000000AC08: E05C1000 80867038
	v_mfma_i32_16x16x32_i8 v[64:67], a[130:131], a[10:11], v[64:67]// 00000000AC10: D3D70040 1D021582
	v_mfma_i32_16x16x32_i8 v[64:67], a[132:133], a[12:13], v[64:67]// 00000000AC18: D3D70040 1D021984
	v_mfma_i32_16x16x32_i8 v[64:67], a[134:135], a[14:15], v[64:67]// 00000000AC20: D3D70040 1D021D86
	v_mfma_i32_16x16x32_i8 v[80:83], a[136:137], a[8:9], v[80:83]// 00000000AC28: D3D70050 1D421188
	buffer_load_dwordx4 a[116:119], v56, s[24:27], 0 offen offset:1024// 00000000AC30: E05C1400 80867438
	v_mfma_i32_16x16x32_i8 v[80:83], a[138:139], a[10:11], v[80:83]// 00000000AC38: D3D70050 1D42158A
	v_mfma_i32_16x16x32_i8 v[80:83], a[140:141], a[12:13], v[80:83]// 00000000AC40: D3D70050 1D42198C
	v_mfma_i32_16x16x32_i8 v[80:83], a[142:143], a[14:15], v[80:83]// 00000000AC48: D3D70050 1D421D8E
	v_mfma_i32_16x16x32_i8 v[96:99], a[144:145], a[8:9], v[96:99]// 00000000AC50: D3D70060 1D821190
	buffer_load_dwordx4 a[120:123], v57, s[24:27], 0 offen     // 00000000AC58: E05C1000 80867839
	v_mfma_i32_16x16x32_i8 v[96:99], a[146:147], a[10:11], v[96:99]// 00000000AC60: D3D70060 1D821592
	v_mfma_i32_16x16x32_i8 v[96:99], a[148:149], a[12:13], v[96:99]// 00000000AC68: D3D70060 1D821994
	v_mfma_i32_16x16x32_i8 v[96:99], a[150:151], a[14:15], v[96:99]// 00000000AC70: D3D70060 1D821D96
	v_mfma_i32_16x16x32_i8 v[112:115], a[152:153], a[8:9], v[112:115]// 00000000AC78: D3D70070 1DC21198
	buffer_load_dwordx4 a[124:127], v57, s[24:27], 0 offen offset:1024// 00000000AC80: E05C1400 80867C39
	buffer_load_dword v46, s[20:23], 0 offen lds               // 00000000AC88: E0511000 8005002E
	s_add_u32 m0, 0x100, s48                                   // 00000000AC90: 807C30FF 00000100
	v_mfma_i32_16x16x32_i8 v[112:115], a[154:155], a[10:11], v[112:115]// 00000000AC98: D3D70070 1DC2159A
	v_mfma_i32_16x16x32_i8 v[112:115], a[156:157], a[12:13], v[112:115]// 00000000ACA0: D3D70070 1DC2199C
	buffer_load_dword v47, s[20:23], 0 offen lds               // 00000000ACA8: E0511000 8005002F
	s_add_u32 m0, 0x200, s48                                   // 00000000ACB0: 807C30FF 00000200
	v_mfma_i32_16x16x32_i8 v[112:115], a[158:159], a[14:15], v[112:115]// 00000000ACB8: D3D70070 1DC21D9E
	v_mfma_i32_16x16x32_i8 v[68:71], a[128:129], a[16:17], v[68:71]// 00000000ACC0: D3D70044 1D122180
	buffer_load_dword v48, s[20:23], 0 offen lds               // 00000000ACC8: E0511000 80050030
	s_add_u32 m0, 0x300, s48                                   // 00000000ACD0: 807C30FF 00000300
	v_mfma_i32_16x16x32_i8 v[68:71], a[130:131], a[18:19], v[68:71]// 00000000ACD8: D3D70044 1D122582
	v_mfma_i32_16x16x32_i8 v[68:71], a[132:133], a[20:21], v[68:71]// 00000000ACE0: D3D70044 1D122984
	buffer_load_dword v49, s[20:23], 0 offen lds               // 00000000ACE8: E0511000 80050031
	s_add_u32 m0, 0x400, s48                                   // 00000000ACF0: 807C30FF 00000400
	v_mfma_i32_16x16x32_i8 v[68:71], a[134:135], a[22:23], v[68:71]// 00000000ACF8: D3D70044 1D122D86
	v_mfma_i32_16x16x32_i8 v[84:87], a[136:137], a[16:17], v[84:87]// 00000000AD00: D3D70054 1D522188
	buffer_load_dword v50, s[20:23], 0 offen lds               // 00000000AD08: E0511000 80050032
	s_add_u32 m0, 0x500, s48                                   // 00000000AD10: 807C30FF 00000500
	v_mfma_i32_16x16x32_i8 v[84:87], a[138:139], a[18:19], v[84:87]// 00000000AD18: D3D70054 1D52258A
	v_mfma_i32_16x16x32_i8 v[84:87], a[140:141], a[20:21], v[84:87]// 00000000AD20: D3D70054 1D52298C
	buffer_load_dword v51, s[20:23], 0 offen lds               // 00000000AD28: E0511000 80050033
	s_add_u32 m0, 0x600, s48                                   // 00000000AD30: 807C30FF 00000600
	v_mfma_i32_16x16x32_i8 v[84:87], a[142:143], a[22:23], v[84:87]// 00000000AD38: D3D70054 1D522D8E
	v_mfma_i32_16x16x32_i8 v[100:103], a[144:145], a[16:17], v[100:103]// 00000000AD40: D3D70064 1D922190
	buffer_load_dword v52, s[20:23], 0 offen lds               // 00000000AD48: E0511000 80050034
	s_add_u32 m0, 0x700, s48                                   // 00000000AD50: 807C30FF 00000700
	v_mfma_i32_16x16x32_i8 v[100:103], a[146:147], a[18:19], v[100:103]// 00000000AD58: D3D70064 1D922592
	v_mfma_i32_16x16x32_i8 v[100:103], a[148:149], a[20:21], v[100:103]// 00000000AD60: D3D70064 1D922994
	buffer_load_dword v53, s[20:23], 0 offen lds               // 00000000AD68: E0511000 80050035
	s_add_u32 m0, 0, s49                                       // 00000000AD70: 807C3180
	v_mfma_i32_16x16x32_i8 v[100:103], a[150:151], a[22:23], v[100:103]// 00000000AD74: D3D70064 1D922D96
	v_mfma_i32_16x16x32_i8 v[116:119], a[152:153], a[16:17], v[116:119]// 00000000AD7C: D3D70074 1DD22198
	v_mfma_i32_16x16x32_i8 v[116:119], a[154:155], a[18:19], v[116:119]// 00000000AD84: D3D70074 1DD2259A
	v_mfma_i32_16x16x32_i8 v[116:119], a[156:157], a[20:21], v[116:119]// 00000000AD8C: D3D70074 1DD2299C
	v_mfma_i32_16x16x32_i8 v[116:119], a[158:159], a[22:23], v[116:119]// 00000000AD94: D3D70074 1DD22D9E
	v_mfma_i32_16x16x32_i8 v[72:75], a[128:129], a[24:25], v[72:75]// 00000000AD9C: D3D70048 1D223180
	v_mfma_i32_16x16x32_i8 v[72:75], a[130:131], a[26:27], v[72:75]// 00000000ADA4: D3D70048 1D223582
	v_mfma_i32_16x16x32_i8 v[72:75], a[132:133], a[28:29], v[72:75]// 00000000ADAC: D3D70048 1D223984
	v_mfma_i32_16x16x32_i8 v[72:75], a[134:135], a[30:31], v[72:75]// 00000000ADB4: D3D70048 1D223D86
	v_mfma_i32_16x16x32_i8 v[88:91], a[136:137], a[24:25], v[88:91]// 00000000ADBC: D3D70058 1D623188
	v_mfma_i32_16x16x32_i8 v[88:91], a[138:139], a[26:27], v[88:91]// 00000000ADC4: D3D70058 1D62358A
	v_mfma_i32_16x16x32_i8 v[88:91], a[140:141], a[28:29], v[88:91]// 00000000ADCC: D3D70058 1D62398C
	v_mfma_i32_16x16x32_i8 v[88:91], a[142:143], a[30:31], v[88:91]// 00000000ADD4: D3D70058 1D623D8E
	v_mfma_i32_16x16x32_i8 v[104:107], a[144:145], a[24:25], v[104:107]// 00000000ADDC: D3D70068 1DA23190
	v_mfma_i32_16x16x32_i8 v[104:107], a[146:147], a[26:27], v[104:107]// 00000000ADE4: D3D70068 1DA23592
	v_mfma_i32_16x16x32_i8 v[104:107], a[148:149], a[28:29], v[104:107]// 00000000ADEC: D3D70068 1DA23994
	v_mfma_i32_16x16x32_i8 v[104:107], a[150:151], a[30:31], v[104:107]// 00000000ADF4: D3D70068 1DA23D96
	v_mfma_i32_16x16x32_i8 v[120:123], a[152:153], a[24:25], v[120:123]// 00000000ADFC: D3D70078 1DE23198
	v_mfma_i32_16x16x32_i8 v[120:123], a[154:155], a[26:27], v[120:123]// 00000000AE04: D3D70078 1DE2359A
	v_mfma_i32_16x16x32_i8 v[120:123], a[156:157], a[28:29], v[120:123]// 00000000AE0C: D3D70078 1DE2399C
	v_mfma_i32_16x16x32_i8 v[120:123], a[158:159], a[30:31], v[120:123]// 00000000AE14: D3D70078 1DE23D9E
	s_waitcnt vmcnt(16)                                        // 00000000AE1C: BF8C4F70
	s_barrier                                                  // 00000000AE20: BF8A0000
	v_mfma_i32_16x16x32_i8 v[124:127], a[64:65], a[0:1], v[124:127]// 00000000AE24: D3D7007C 1DF20140
	buffer_load_dwordx4 a[128:131], v54, s[84:87], 0 offen     // 00000000AE2C: E05C1000 80958036
	v_mfma_i32_16x16x32_i8 v[124:127], a[66:67], a[2:3], v[124:127]// 00000000AE34: D3D7007C 1DF20542
	v_mfma_i32_16x16x32_i8 v[124:127], a[68:69], a[4:5], v[124:127]// 00000000AE3C: D3D7007C 1DF20944
	ds_read_b128 a[32:35], v2 offset:16640                     // 00000000AE44: DBFE4100 20000002
	ds_read_b128 a[36:39], v2 offset:16704                     // 00000000AE4C: DBFE4140 24000002
	v_mfma_i32_16x16x32_i8 v[124:127], a[70:71], a[6:7], v[124:127]// 00000000AE54: D3D7007C 1DF20D46
	v_mfma_i32_16x16x32_i8 v[140:143], a[72:73], a[0:1], v[140:143]// 00000000AE5C: D3D7008C 1E320148
	buffer_load_dwordx4 a[132:135], v54, s[84:87], 0 offen offset:1024// 00000000AE64: E05C1400 80958436
	v_mfma_i32_16x16x32_i8 v[140:143], a[74:75], a[2:3], v[140:143]// 00000000AE6C: D3D7008C 1E32054A
	v_mfma_i32_16x16x32_i8 v[140:143], a[76:77], a[4:5], v[140:143]// 00000000AE74: D3D7008C 1E32094C
	ds_read_b128 a[40:43], v2 offset:17152                     // 00000000AE7C: DBFE4300 28000002
	ds_read_b128 a[44:47], v2 offset:17216                     // 00000000AE84: DBFE4340 2C000002
	v_mfma_i32_16x16x32_i8 v[140:143], a[78:79], a[6:7], v[140:143]// 00000000AE8C: D3D7008C 1E320D4E
	v_mfma_i32_16x16x32_i8 v[156:159], a[80:81], a[0:1], v[156:159]// 00000000AE94: D3D7009C 1E720150
	buffer_load_dwordx4 a[136:139], v55, s[84:87], 0 offen     // 00000000AE9C: E05C1000 80958837
	v_mfma_i32_16x16x32_i8 v[156:159], a[82:83], a[2:3], v[156:159]// 00000000AEA4: D3D7009C 1E720552
	v_mfma_i32_16x16x32_i8 v[156:159], a[84:85], a[4:5], v[156:159]// 00000000AEAC: D3D7009C 1E720954
	ds_read_b128 a[48:51], v2 offset:17664                     // 00000000AEB4: DBFE4500 30000002
	ds_read_b128 a[52:55], v2 offset:17728                     // 00000000AEBC: DBFE4540 34000002
	v_mfma_i32_16x16x32_i8 v[156:159], a[86:87], a[6:7], v[156:159]// 00000000AEC4: D3D7009C 1E720D56
	v_mfma_i32_16x16x32_i8 v[172:175], a[88:89], a[0:1], v[172:175]// 00000000AECC: D3D700AC 1EB20158
	buffer_load_dwordx4 a[140:143], v55, s[84:87], 0 offen offset:1024// 00000000AED4: E05C1400 80958C37
	v_mfma_i32_16x16x32_i8 v[172:175], a[90:91], a[2:3], v[172:175]// 00000000AEDC: D3D700AC 1EB2055A
	v_mfma_i32_16x16x32_i8 v[172:175], a[92:93], a[4:5], v[172:175]// 00000000AEE4: D3D700AC 1EB2095C
	ds_read_b128 a[56:59], v2 offset:18176                     // 00000000AEEC: DBFE4700 38000002
	ds_read_b128 a[60:63], v2 offset:18240                     // 00000000AEF4: DBFE4740 3C000002
	v_mfma_i32_16x16x32_i8 v[172:175], a[94:95], a[6:7], v[172:175]// 00000000AEFC: D3D700AC 1EB20D5E
	v_mfma_i32_16x16x32_i8 v[128:131], a[64:65], a[8:9], v[128:131]// 00000000AF04: D3D70080 1E021140
	buffer_load_dwordx4 a[144:147], v56, s[84:87], 0 offen     // 00000000AF0C: E05C1000 80959038
	v_mfma_i32_16x16x32_i8 v[128:131], a[66:67], a[10:11], v[128:131]// 00000000AF14: D3D70080 1E021542
	v_mfma_i32_16x16x32_i8 v[128:131], a[68:69], a[12:13], v[128:131]// 00000000AF1C: D3D70080 1E021944
	v_mfma_i32_16x16x32_i8 v[128:131], a[70:71], a[14:15], v[128:131]// 00000000AF24: D3D70080 1E021D46
	v_mfma_i32_16x16x32_i8 v[144:147], a[72:73], a[8:9], v[144:147]// 00000000AF2C: D3D70090 1E421148
	buffer_load_dwordx4 a[148:151], v56, s[84:87], 0 offen offset:1024// 00000000AF34: E05C1400 80959438
	v_mfma_i32_16x16x32_i8 v[144:147], a[74:75], a[10:11], v[144:147]// 00000000AF3C: D3D70090 1E42154A
	v_mfma_i32_16x16x32_i8 v[144:147], a[76:77], a[12:13], v[144:147]// 00000000AF44: D3D70090 1E42194C
	v_mfma_i32_16x16x32_i8 v[144:147], a[78:79], a[14:15], v[144:147]// 00000000AF4C: D3D70090 1E421D4E
	v_mfma_i32_16x16x32_i8 v[160:163], a[80:81], a[8:9], v[160:163]// 00000000AF54: D3D700A0 1E821150
	buffer_load_dwordx4 a[152:155], v57, s[84:87], 0 offen     // 00000000AF5C: E05C1000 80959839
	v_mfma_i32_16x16x32_i8 v[160:163], a[82:83], a[10:11], v[160:163]// 00000000AF64: D3D700A0 1E821552
	v_mfma_i32_16x16x32_i8 v[160:163], a[84:85], a[12:13], v[160:163]// 00000000AF6C: D3D700A0 1E821954
	v_mfma_i32_16x16x32_i8 v[160:163], a[86:87], a[14:15], v[160:163]// 00000000AF74: D3D700A0 1E821D56
	v_mfma_i32_16x16x32_i8 v[176:179], a[88:89], a[8:9], v[176:179]// 00000000AF7C: D3D700B0 1EC21158
	buffer_load_dwordx4 a[156:159], v57, s[84:87], 0 offen offset:1024// 00000000AF84: E05C1400 80959C39
	v_mfma_i32_16x16x32_i8 v[176:179], a[90:91], a[10:11], v[176:179]// 00000000AF8C: D3D700B0 1EC2155A
	v_mfma_i32_16x16x32_i8 v[176:179], a[92:93], a[12:13], v[176:179]// 00000000AF94: D3D700B0 1EC2195C
	v_mfma_i32_16x16x32_i8 v[176:179], a[94:95], a[14:15], v[176:179]// 00000000AF9C: D3D700B0 1EC21D5E
	v_mfma_i32_16x16x32_i8 v[132:135], a[64:65], a[16:17], v[132:135]// 00000000AFA4: D3D70084 1E122140
	v_mfma_i32_16x16x32_i8 v[132:135], a[66:67], a[18:19], v[132:135]// 00000000AFAC: D3D70084 1E122542
	v_mfma_i32_16x16x32_i8 v[132:135], a[68:69], a[20:21], v[132:135]// 00000000AFB4: D3D70084 1E122944
	v_mfma_i32_16x16x32_i8 v[132:135], a[70:71], a[22:23], v[132:135]// 00000000AFBC: D3D70084 1E122D46
	v_mfma_i32_16x16x32_i8 v[148:151], a[72:73], a[16:17], v[148:151]// 00000000AFC4: D3D70094 1E522148
	v_mfma_i32_16x16x32_i8 v[148:151], a[74:75], a[18:19], v[148:151]// 00000000AFCC: D3D70094 1E52254A
	v_mfma_i32_16x16x32_i8 v[148:151], a[76:77], a[20:21], v[148:151]// 00000000AFD4: D3D70094 1E52294C
	v_mfma_i32_16x16x32_i8 v[148:151], a[78:79], a[22:23], v[148:151]// 00000000AFDC: D3D70094 1E522D4E
	v_mfma_i32_16x16x32_i8 v[164:167], a[80:81], a[16:17], v[164:167]// 00000000AFE4: D3D700A4 1E922150
	v_mfma_i32_16x16x32_i8 v[164:167], a[82:83], a[18:19], v[164:167]// 00000000AFEC: D3D700A4 1E922552
	v_mfma_i32_16x16x32_i8 v[164:167], a[84:85], a[20:21], v[164:167]// 00000000AFF4: D3D700A4 1E922954
	v_mfma_i32_16x16x32_i8 v[164:167], a[86:87], a[22:23], v[164:167]// 00000000AFFC: D3D700A4 1E922D56
	v_mfma_i32_16x16x32_i8 v[180:183], a[88:89], a[16:17], v[180:183]// 00000000B004: D3D700B4 1ED22158
	v_mfma_i32_16x16x32_i8 v[180:183], a[90:91], a[18:19], v[180:183]// 00000000B00C: D3D700B4 1ED2255A
	v_mfma_i32_16x16x32_i8 v[180:183], a[92:93], a[20:21], v[180:183]// 00000000B014: D3D700B4 1ED2295C
	v_mfma_i32_16x16x32_i8 v[180:183], a[94:95], a[22:23], v[180:183]// 00000000B01C: D3D700B4 1ED22D5E
	v_mfma_i32_16x16x32_i8 v[136:139], a[64:65], a[24:25], v[136:139]// 00000000B024: D3D70088 1E223140
	v_mfma_i32_16x16x32_i8 v[136:139], a[66:67], a[26:27], v[136:139]// 00000000B02C: D3D70088 1E223542
	v_mfma_i32_16x16x32_i8 v[136:139], a[68:69], a[28:29], v[136:139]// 00000000B034: D3D70088 1E223944
	v_mfma_i32_16x16x32_i8 v[136:139], a[70:71], a[30:31], v[136:139]// 00000000B03C: D3D70088 1E223D46
	v_mfma_i32_16x16x32_i8 v[152:155], a[72:73], a[24:25], v[152:155]// 00000000B044: D3D70098 1E623148
	v_mfma_i32_16x16x32_i8 v[152:155], a[74:75], a[26:27], v[152:155]// 00000000B04C: D3D70098 1E62354A
	v_mfma_i32_16x16x32_i8 v[152:155], a[76:77], a[28:29], v[152:155]// 00000000B054: D3D70098 1E62394C
	v_mfma_i32_16x16x32_i8 v[152:155], a[78:79], a[30:31], v[152:155]// 00000000B05C: D3D70098 1E623D4E
	v_mfma_i32_16x16x32_i8 v[168:171], a[80:81], a[24:25], v[168:171]// 00000000B064: D3D700A8 1EA23150
	s_add_u32 s60, 0x180, s80                                  // 00000000B06C: 803C50FF 00000180
	s_cmp_lt_u32 s60, s81                                      // 00000000B074: BF0A513C
	s_cselect_b32 s57, s57, 0                                  // 00000000B078: 85398039
	v_mfma_i32_16x16x32_i8 v[168:171], a[82:83], a[26:27], v[168:171]// 00000000B07C: D3D700A8 1EA23552
	s_add_u32 s60, 0x100, s80                                  // 00000000B084: 803C50FF 00000100
	s_cmp_lt_u32 s60, s81                                      // 00000000B08C: BF0A513C
	s_cselect_b32 s58, s58, 0                                  // 00000000B090: 853A803A
	v_mfma_i32_16x16x32_i8 v[168:171], a[84:85], a[28:29], v[168:171]// 00000000B094: D3D700A8 1EA23954
	s_add_u32 s60, 0x100, s80                                  // 00000000B09C: 803C50FF 00000100
	s_cmp_lt_u32 s60, s81                                      // 00000000B0A4: BF0A513C
	s_cselect_b32 s83, s83, 0                                  // 00000000B0A8: 85538053
	v_mfma_i32_16x16x32_i8 v[168:171], a[86:87], a[30:31], v[168:171]// 00000000B0AC: D3D700A8 1EA23D56
	s_add_u32 s24, s58, s24                                    // 00000000B0B4: 8018183A
	s_addc_u32 s25, 0, s25                                     // 00000000B0B8: 82191980
	v_mfma_i32_16x16x32_i8 v[184:187], a[88:89], a[24:25], v[184:187]// 00000000B0BC: D3D700B8 1EE23158
	s_add_u32 s20, s57, s20                                    // 00000000B0C4: 80141439
	s_addc_u32 s21, 0, s21                                     // 00000000B0C8: 82151580
	v_mfma_i32_16x16x32_i8 v[184:187], a[90:91], a[26:27], v[184:187]// 00000000B0CC: D3D700B8 1EE2355A
	s_add_u32 s84, s83, s84                                    // 00000000B0D4: 80545453
	s_addc_u32 s85, 0, s85                                     // 00000000B0D8: 82555580
	v_mfma_i32_16x16x32_i8 v[184:187], a[92:93], a[28:29], v[184:187]// 00000000B0DC: D3D700B8 1EE2395C
	v_mfma_i32_16x16x32_i8 v[184:187], a[94:95], a[30:31], v[184:187]// 00000000B0E4: D3D700B8 1EE23D5E
	s_addk_i32 s80, 0x80                                       // 00000000B0EC: B7500080
	s_cmp_lt_i32 s80, s81                                      // 00000000B0F0: BF045150
	s_cbranch_scc0 label_2329                                  // 00000000B0F4: BF840168
	s_waitcnt vmcnt(16) lgkmcnt(0)                             // 00000000B0F8: BF8C4070
	v_mfma_i32_16x16x32_i8 v[60:63], a[96:97], a[32:33], v[60:63]// 00000000B0FC: D3D7003C 1CF24160
	buffer_load_dwordx4 a[64:67], v54, s[24:27], 0 offen       // 00000000B104: E05C1000 80864036
	v_mfma_i32_16x16x32_i8 v[60:63], a[98:99], a[34:35], v[60:63]// 00000000B10C: D3D7003C 1CF24562
	v_mfma_i32_16x16x32_i8 v[60:63], a[100:101], a[36:37], v[60:63]// 00000000B114: D3D7003C 1CF24964
	v_mfma_i32_16x16x32_i8 v[60:63], a[102:103], a[38:39], v[60:63]// 00000000B11C: D3D7003C 1CF24D66
	v_mfma_i32_16x16x32_i8 v[76:79], a[104:105], a[32:33], v[76:79]// 00000000B124: D3D7004C 1D324168
	buffer_load_dwordx4 a[68:71], v54, s[24:27], 0 offen offset:1024// 00000000B12C: E05C1400 80864436
	v_mfma_i32_16x16x32_i8 v[76:79], a[106:107], a[34:35], v[76:79]// 00000000B134: D3D7004C 1D32456A
	v_mfma_i32_16x16x32_i8 v[76:79], a[108:109], a[36:37], v[76:79]// 00000000B13C: D3D7004C 1D32496C
	v_mfma_i32_16x16x32_i8 v[76:79], a[110:111], a[38:39], v[76:79]// 00000000B144: D3D7004C 1D324D6E
	v_mfma_i32_16x16x32_i8 v[92:95], a[112:113], a[32:33], v[92:95]// 00000000B14C: D3D7005C 1D724170
	buffer_load_dwordx4 a[72:75], v55, s[24:27], 0 offen       // 00000000B154: E05C1000 80864837
	v_mfma_i32_16x16x32_i8 v[92:95], a[114:115], a[34:35], v[92:95]// 00000000B15C: D3D7005C 1D724572
	v_mfma_i32_16x16x32_i8 v[92:95], a[116:117], a[36:37], v[92:95]// 00000000B164: D3D7005C 1D724974
	v_mfma_i32_16x16x32_i8 v[92:95], a[118:119], a[38:39], v[92:95]// 00000000B16C: D3D7005C 1D724D76
	v_mfma_i32_16x16x32_i8 v[108:111], a[120:121], a[32:33], v[108:111]// 00000000B174: D3D7006C 1DB24178
	buffer_load_dwordx4 a[76:79], v55, s[24:27], 0 offen offset:1024// 00000000B17C: E05C1400 80864C37
	v_mfma_i32_16x16x32_i8 v[108:111], a[122:123], a[34:35], v[108:111]// 00000000B184: D3D7006C 1DB2457A
	v_mfma_i32_16x16x32_i8 v[108:111], a[124:125], a[36:37], v[108:111]// 00000000B18C: D3D7006C 1DB2497C
	v_mfma_i32_16x16x32_i8 v[108:111], a[126:127], a[38:39], v[108:111]// 00000000B194: D3D7006C 1DB24D7E
	v_mfma_i32_16x16x32_i8 v[64:67], a[96:97], a[40:41], v[64:67]// 00000000B19C: D3D70040 1D025160
	buffer_load_dwordx4 a[80:83], v56, s[24:27], 0 offen       // 00000000B1A4: E05C1000 80865038
	v_mfma_i32_16x16x32_i8 v[64:67], a[98:99], a[42:43], v[64:67]// 00000000B1AC: D3D70040 1D025562
	v_mfma_i32_16x16x32_i8 v[64:67], a[100:101], a[44:45], v[64:67]// 00000000B1B4: D3D70040 1D025964
	v_mfma_i32_16x16x32_i8 v[64:67], a[102:103], a[46:47], v[64:67]// 00000000B1BC: D3D70040 1D025D66
	v_mfma_i32_16x16x32_i8 v[80:83], a[104:105], a[40:41], v[80:83]// 00000000B1C4: D3D70050 1D425168
	buffer_load_dwordx4 a[84:87], v56, s[24:27], 0 offen offset:1024// 00000000B1CC: E05C1400 80865438
	v_mfma_i32_16x16x32_i8 v[80:83], a[106:107], a[42:43], v[80:83]// 00000000B1D4: D3D70050 1D42556A
	v_mfma_i32_16x16x32_i8 v[80:83], a[108:109], a[44:45], v[80:83]// 00000000B1DC: D3D70050 1D42596C
	v_mfma_i32_16x16x32_i8 v[80:83], a[110:111], a[46:47], v[80:83]// 00000000B1E4: D3D70050 1D425D6E
	v_mfma_i32_16x16x32_i8 v[96:99], a[112:113], a[40:41], v[96:99]// 00000000B1EC: D3D70060 1D825170
	buffer_load_dwordx4 a[88:91], v57, s[24:27], 0 offen       // 00000000B1F4: E05C1000 80865839
	v_mfma_i32_16x16x32_i8 v[96:99], a[114:115], a[42:43], v[96:99]// 00000000B1FC: D3D70060 1D825572
	v_mfma_i32_16x16x32_i8 v[96:99], a[116:117], a[44:45], v[96:99]// 00000000B204: D3D70060 1D825974
	v_mfma_i32_16x16x32_i8 v[96:99], a[118:119], a[46:47], v[96:99]// 00000000B20C: D3D70060 1D825D76
	v_mfma_i32_16x16x32_i8 v[112:115], a[120:121], a[40:41], v[112:115]// 00000000B214: D3D70070 1DC25178
	buffer_load_dwordx4 a[92:95], v57, s[24:27], 0 offen offset:1024// 00000000B21C: E05C1400 80865C39
	buffer_load_dword v46, s[20:23], 0 offen lds               // 00000000B224: E0511000 8005002E
	s_add_u32 m0, 0x100, s49                                   // 00000000B22C: 807C31FF 00000100
	v_mfma_i32_16x16x32_i8 v[112:115], a[122:123], a[42:43], v[112:115]// 00000000B234: D3D70070 1DC2557A
	v_mfma_i32_16x16x32_i8 v[112:115], a[124:125], a[44:45], v[112:115]// 00000000B23C: D3D70070 1DC2597C
	buffer_load_dword v47, s[20:23], 0 offen lds               // 00000000B244: E0511000 8005002F
	s_add_u32 m0, 0x200, s49                                   // 00000000B24C: 807C31FF 00000200
	v_mfma_i32_16x16x32_i8 v[112:115], a[126:127], a[46:47], v[112:115]// 00000000B254: D3D70070 1DC25D7E
	v_mfma_i32_16x16x32_i8 v[68:71], a[96:97], a[48:49], v[68:71]// 00000000B25C: D3D70044 1D126160
	buffer_load_dword v48, s[20:23], 0 offen lds               // 00000000B264: E0511000 80050030
	s_add_u32 m0, 0x300, s49                                   // 00000000B26C: 807C31FF 00000300
	v_mfma_i32_16x16x32_i8 v[68:71], a[98:99], a[50:51], v[68:71]// 00000000B274: D3D70044 1D126562
	v_mfma_i32_16x16x32_i8 v[68:71], a[100:101], a[52:53], v[68:71]// 00000000B27C: D3D70044 1D126964
	buffer_load_dword v49, s[20:23], 0 offen lds               // 00000000B284: E0511000 80050031
	s_add_u32 m0, 0x400, s49                                   // 00000000B28C: 807C31FF 00000400
	v_mfma_i32_16x16x32_i8 v[68:71], a[102:103], a[54:55], v[68:71]// 00000000B294: D3D70044 1D126D66
	v_mfma_i32_16x16x32_i8 v[84:87], a[104:105], a[48:49], v[84:87]// 00000000B29C: D3D70054 1D526168
	buffer_load_dword v50, s[20:23], 0 offen lds               // 00000000B2A4: E0511000 80050032
	s_add_u32 m0, 0x500, s49                                   // 00000000B2AC: 807C31FF 00000500
	v_mfma_i32_16x16x32_i8 v[84:87], a[106:107], a[50:51], v[84:87]// 00000000B2B4: D3D70054 1D52656A
	v_mfma_i32_16x16x32_i8 v[84:87], a[108:109], a[52:53], v[84:87]// 00000000B2BC: D3D70054 1D52696C
	buffer_load_dword v51, s[20:23], 0 offen lds               // 00000000B2C4: E0511000 80050033
	s_add_u32 m0, 0x600, s49                                   // 00000000B2CC: 807C31FF 00000600
	v_mfma_i32_16x16x32_i8 v[84:87], a[110:111], a[54:55], v[84:87]// 00000000B2D4: D3D70054 1D526D6E
	v_mfma_i32_16x16x32_i8 v[100:103], a[112:113], a[48:49], v[100:103]// 00000000B2DC: D3D70064 1D926170
	buffer_load_dword v52, s[20:23], 0 offen lds               // 00000000B2E4: E0511000 80050034
	s_add_u32 m0, 0x700, s49                                   // 00000000B2EC: 807C31FF 00000700
	v_mfma_i32_16x16x32_i8 v[100:103], a[114:115], a[50:51], v[100:103]// 00000000B2F4: D3D70064 1D926572
	v_mfma_i32_16x16x32_i8 v[100:103], a[116:117], a[52:53], v[100:103]// 00000000B2FC: D3D70064 1D926974
	buffer_load_dword v53, s[20:23], 0 offen lds               // 00000000B304: E0511000 80050035
	s_add_u32 m0, 0, s50                                       // 00000000B30C: 807C3280
	v_mfma_i32_16x16x32_i8 v[100:103], a[118:119], a[54:55], v[100:103]// 00000000B310: D3D70064 1D926D76
	v_mfma_i32_16x16x32_i8 v[116:119], a[120:121], a[48:49], v[116:119]// 00000000B318: D3D70074 1DD26178
	v_mfma_i32_16x16x32_i8 v[116:119], a[122:123], a[50:51], v[116:119]// 00000000B320: D3D70074 1DD2657A
	v_mfma_i32_16x16x32_i8 v[116:119], a[124:125], a[52:53], v[116:119]// 00000000B328: D3D70074 1DD2697C
	v_mfma_i32_16x16x32_i8 v[116:119], a[126:127], a[54:55], v[116:119]// 00000000B330: D3D70074 1DD26D7E
	v_mfma_i32_16x16x32_i8 v[72:75], a[96:97], a[56:57], v[72:75]// 00000000B338: D3D70048 1D227160
	v_mfma_i32_16x16x32_i8 v[72:75], a[98:99], a[58:59], v[72:75]// 00000000B340: D3D70048 1D227562
	v_mfma_i32_16x16x32_i8 v[72:75], a[100:101], a[60:61], v[72:75]// 00000000B348: D3D70048 1D227964
	v_mfma_i32_16x16x32_i8 v[72:75], a[102:103], a[62:63], v[72:75]// 00000000B350: D3D70048 1D227D66
	v_mfma_i32_16x16x32_i8 v[88:91], a[104:105], a[56:57], v[88:91]// 00000000B358: D3D70058 1D627168
	v_mfma_i32_16x16x32_i8 v[88:91], a[106:107], a[58:59], v[88:91]// 00000000B360: D3D70058 1D62756A
	v_mfma_i32_16x16x32_i8 v[88:91], a[108:109], a[60:61], v[88:91]// 00000000B368: D3D70058 1D62796C
	v_mfma_i32_16x16x32_i8 v[88:91], a[110:111], a[62:63], v[88:91]// 00000000B370: D3D70058 1D627D6E
	v_mfma_i32_16x16x32_i8 v[104:107], a[112:113], a[56:57], v[104:107]// 00000000B378: D3D70068 1DA27170
	v_mfma_i32_16x16x32_i8 v[104:107], a[114:115], a[58:59], v[104:107]// 00000000B380: D3D70068 1DA27572
	v_mfma_i32_16x16x32_i8 v[104:107], a[116:117], a[60:61], v[104:107]// 00000000B388: D3D70068 1DA27974
	v_mfma_i32_16x16x32_i8 v[104:107], a[118:119], a[62:63], v[104:107]// 00000000B390: D3D70068 1DA27D76
	v_mfma_i32_16x16x32_i8 v[120:123], a[120:121], a[56:57], v[120:123]// 00000000B398: D3D70078 1DE27178
	v_mfma_i32_16x16x32_i8 v[120:123], a[122:123], a[58:59], v[120:123]// 00000000B3A0: D3D70078 1DE2757A
	v_mfma_i32_16x16x32_i8 v[120:123], a[124:125], a[60:61], v[120:123]// 00000000B3A8: D3D70078 1DE2797C
	v_mfma_i32_16x16x32_i8 v[120:123], a[126:127], a[62:63], v[120:123]// 00000000B3B0: D3D70078 1DE27D7E
	s_waitcnt vmcnt(16)                                        // 00000000B3B8: BF8C4F70
	s_barrier                                                  // 00000000B3BC: BF8A0000
	v_mfma_i32_16x16x32_i8 v[124:127], a[128:129], a[32:33], v[124:127]// 00000000B3C0: D3D7007C 1DF24180
	buffer_load_dwordx4 a[96:99], v54, s[84:87], 0 offen       // 00000000B3C8: E05C1000 80956036
	v_mfma_i32_16x16x32_i8 v[124:127], a[130:131], a[34:35], v[124:127]// 00000000B3D0: D3D7007C 1DF24582
	v_mfma_i32_16x16x32_i8 v[124:127], a[132:133], a[36:37], v[124:127]// 00000000B3D8: D3D7007C 1DF24984
	ds_read_b128 a[0:3], v2                                    // 00000000B3E0: DBFE0000 00000002
	ds_read_b128 a[4:7], v2 offset:64                          // 00000000B3E8: DBFE0040 04000002
	v_mfma_i32_16x16x32_i8 v[124:127], a[134:135], a[38:39], v[124:127]// 00000000B3F0: D3D7007C 1DF24D86
	v_mfma_i32_16x16x32_i8 v[140:143], a[136:137], a[32:33], v[140:143]// 00000000B3F8: D3D7008C 1E324188
	buffer_load_dwordx4 a[100:103], v54, s[84:87], 0 offen offset:1024// 00000000B400: E05C1400 80956436
	v_mfma_i32_16x16x32_i8 v[140:143], a[138:139], a[34:35], v[140:143]// 00000000B408: D3D7008C 1E32458A
	v_mfma_i32_16x16x32_i8 v[140:143], a[140:141], a[36:37], v[140:143]// 00000000B410: D3D7008C 1E32498C
	ds_read_b128 a[8:11], v2 offset:512                        // 00000000B418: DBFE0200 08000002
	ds_read_b128 a[12:15], v2 offset:576                       // 00000000B420: DBFE0240 0C000002
	v_mfma_i32_16x16x32_i8 v[140:143], a[142:143], a[38:39], v[140:143]// 00000000B428: D3D7008C 1E324D8E
	v_mfma_i32_16x16x32_i8 v[156:159], a[144:145], a[32:33], v[156:159]// 00000000B430: D3D7009C 1E724190
	buffer_load_dwordx4 a[104:107], v55, s[84:87], 0 offen     // 00000000B438: E05C1000 80956837
	v_mfma_i32_16x16x32_i8 v[156:159], a[146:147], a[34:35], v[156:159]// 00000000B440: D3D7009C 1E724592
	v_mfma_i32_16x16x32_i8 v[156:159], a[148:149], a[36:37], v[156:159]// 00000000B448: D3D7009C 1E724994
	ds_read_b128 a[16:19], v2 offset:1024                      // 00000000B450: DBFE0400 10000002
	ds_read_b128 a[20:23], v2 offset:1088                      // 00000000B458: DBFE0440 14000002
	v_mfma_i32_16x16x32_i8 v[156:159], a[150:151], a[38:39], v[156:159]// 00000000B460: D3D7009C 1E724D96
	v_mfma_i32_16x16x32_i8 v[172:175], a[152:153], a[32:33], v[172:175]// 00000000B468: D3D700AC 1EB24198
	buffer_load_dwordx4 a[108:111], v55, s[84:87], 0 offen offset:1024// 00000000B470: E05C1400 80956C37
	v_mfma_i32_16x16x32_i8 v[172:175], a[154:155], a[34:35], v[172:175]// 00000000B478: D3D700AC 1EB2459A
	v_mfma_i32_16x16x32_i8 v[172:175], a[156:157], a[36:37], v[172:175]// 00000000B480: D3D700AC 1EB2499C
	ds_read_b128 a[24:27], v2 offset:1536                      // 00000000B488: DBFE0600 18000002
	ds_read_b128 a[28:31], v2 offset:1600                      // 00000000B490: DBFE0640 1C000002
	v_mfma_i32_16x16x32_i8 v[172:175], a[158:159], a[38:39], v[172:175]// 00000000B498: D3D700AC 1EB24D9E
	v_mfma_i32_16x16x32_i8 v[128:131], a[128:129], a[40:41], v[128:131]// 00000000B4A0: D3D70080 1E025180
	buffer_load_dwordx4 a[112:115], v56, s[84:87], 0 offen     // 00000000B4A8: E05C1000 80957038
	v_mfma_i32_16x16x32_i8 v[128:131], a[130:131], a[42:43], v[128:131]// 00000000B4B0: D3D70080 1E025582
	v_mfma_i32_16x16x32_i8 v[128:131], a[132:133], a[44:45], v[128:131]// 00000000B4B8: D3D70080 1E025984
	v_mfma_i32_16x16x32_i8 v[128:131], a[134:135], a[46:47], v[128:131]// 00000000B4C0: D3D70080 1E025D86
	v_mfma_i32_16x16x32_i8 v[144:147], a[136:137], a[40:41], v[144:147]// 00000000B4C8: D3D70090 1E425188
	buffer_load_dwordx4 a[116:119], v56, s[84:87], 0 offen offset:1024// 00000000B4D0: E05C1400 80957438
	v_mfma_i32_16x16x32_i8 v[144:147], a[138:139], a[42:43], v[144:147]// 00000000B4D8: D3D70090 1E42558A
	v_mfma_i32_16x16x32_i8 v[144:147], a[140:141], a[44:45], v[144:147]// 00000000B4E0: D3D70090 1E42598C
	v_mfma_i32_16x16x32_i8 v[144:147], a[142:143], a[46:47], v[144:147]// 00000000B4E8: D3D70090 1E425D8E
	v_mfma_i32_16x16x32_i8 v[160:163], a[144:145], a[40:41], v[160:163]// 00000000B4F0: D3D700A0 1E825190
	buffer_load_dwordx4 a[120:123], v57, s[84:87], 0 offen     // 00000000B4F8: E05C1000 80957839
	v_mfma_i32_16x16x32_i8 v[160:163], a[146:147], a[42:43], v[160:163]// 00000000B500: D3D700A0 1E825592
	v_mfma_i32_16x16x32_i8 v[160:163], a[148:149], a[44:45], v[160:163]// 00000000B508: D3D700A0 1E825994
	v_mfma_i32_16x16x32_i8 v[160:163], a[150:151], a[46:47], v[160:163]// 00000000B510: D3D700A0 1E825D96
	v_mfma_i32_16x16x32_i8 v[176:179], a[152:153], a[40:41], v[176:179]// 00000000B518: D3D700B0 1EC25198
	buffer_load_dwordx4 a[124:127], v57, s[84:87], 0 offen offset:1024// 00000000B520: E05C1400 80957C39
	v_mfma_i32_16x16x32_i8 v[176:179], a[154:155], a[42:43], v[176:179]// 00000000B528: D3D700B0 1EC2559A
	v_mfma_i32_16x16x32_i8 v[176:179], a[156:157], a[44:45], v[176:179]// 00000000B530: D3D700B0 1EC2599C
	v_mfma_i32_16x16x32_i8 v[176:179], a[158:159], a[46:47], v[176:179]// 00000000B538: D3D700B0 1EC25D9E
	v_mfma_i32_16x16x32_i8 v[132:135], a[128:129], a[48:49], v[132:135]// 00000000B540: D3D70084 1E126180
	v_mfma_i32_16x16x32_i8 v[132:135], a[130:131], a[50:51], v[132:135]// 00000000B548: D3D70084 1E126582
	v_mfma_i32_16x16x32_i8 v[132:135], a[132:133], a[52:53], v[132:135]// 00000000B550: D3D70084 1E126984
	v_mfma_i32_16x16x32_i8 v[132:135], a[134:135], a[54:55], v[132:135]// 00000000B558: D3D70084 1E126D86
	v_mfma_i32_16x16x32_i8 v[148:151], a[136:137], a[48:49], v[148:151]// 00000000B560: D3D70094 1E526188
	v_mfma_i32_16x16x32_i8 v[148:151], a[138:139], a[50:51], v[148:151]// 00000000B568: D3D70094 1E52658A
	v_mfma_i32_16x16x32_i8 v[148:151], a[140:141], a[52:53], v[148:151]// 00000000B570: D3D70094 1E52698C
	v_mfma_i32_16x16x32_i8 v[148:151], a[142:143], a[54:55], v[148:151]// 00000000B578: D3D70094 1E526D8E
	v_mfma_i32_16x16x32_i8 v[164:167], a[144:145], a[48:49], v[164:167]// 00000000B580: D3D700A4 1E926190
	v_mfma_i32_16x16x32_i8 v[164:167], a[146:147], a[50:51], v[164:167]// 00000000B588: D3D700A4 1E926592
	v_mfma_i32_16x16x32_i8 v[164:167], a[148:149], a[52:53], v[164:167]// 00000000B590: D3D700A4 1E926994
	v_mfma_i32_16x16x32_i8 v[164:167], a[150:151], a[54:55], v[164:167]// 00000000B598: D3D700A4 1E926D96
	v_mfma_i32_16x16x32_i8 v[180:183], a[152:153], a[48:49], v[180:183]// 00000000B5A0: D3D700B4 1ED26198
	v_mfma_i32_16x16x32_i8 v[180:183], a[154:155], a[50:51], v[180:183]// 00000000B5A8: D3D700B4 1ED2659A
	v_mfma_i32_16x16x32_i8 v[180:183], a[156:157], a[52:53], v[180:183]// 00000000B5B0: D3D700B4 1ED2699C
	v_mfma_i32_16x16x32_i8 v[180:183], a[158:159], a[54:55], v[180:183]// 00000000B5B8: D3D700B4 1ED26D9E
	v_mfma_i32_16x16x32_i8 v[136:139], a[128:129], a[56:57], v[136:139]// 00000000B5C0: D3D70088 1E227180
	v_mfma_i32_16x16x32_i8 v[136:139], a[130:131], a[58:59], v[136:139]// 00000000B5C8: D3D70088 1E227582
	v_mfma_i32_16x16x32_i8 v[136:139], a[132:133], a[60:61], v[136:139]// 00000000B5D0: D3D70088 1E227984
	v_mfma_i32_16x16x32_i8 v[136:139], a[134:135], a[62:63], v[136:139]// 00000000B5D8: D3D70088 1E227D86
	v_mfma_i32_16x16x32_i8 v[152:155], a[136:137], a[56:57], v[152:155]// 00000000B5E0: D3D70098 1E627188
	v_mfma_i32_16x16x32_i8 v[152:155], a[138:139], a[58:59], v[152:155]// 00000000B5E8: D3D70098 1E62758A
	v_mfma_i32_16x16x32_i8 v[152:155], a[140:141], a[60:61], v[152:155]// 00000000B5F0: D3D70098 1E62798C
	v_mfma_i32_16x16x32_i8 v[152:155], a[142:143], a[62:63], v[152:155]// 00000000B5F8: D3D70098 1E627D8E
	v_mfma_i32_16x16x32_i8 v[168:171], a[144:145], a[56:57], v[168:171]// 00000000B600: D3D700A8 1EA27190
	s_add_u32 s60, 0x180, s80                                  // 00000000B608: 803C50FF 00000180
	s_cmp_lt_u32 s60, s81                                      // 00000000B610: BF0A513C
	s_cselect_b32 s57, s57, 0                                  // 00000000B614: 85398039
	v_mfma_i32_16x16x32_i8 v[168:171], a[146:147], a[58:59], v[168:171]// 00000000B618: D3D700A8 1EA27592
	s_add_u32 s60, 0x100, s80                                  // 00000000B620: 803C50FF 00000100
	s_cmp_lt_u32 s60, s81                                      // 00000000B628: BF0A513C
	s_cselect_b32 s58, s58, 0                                  // 00000000B62C: 853A803A
	v_mfma_i32_16x16x32_i8 v[168:171], a[148:149], a[60:61], v[168:171]// 00000000B630: D3D700A8 1EA27994
	s_add_u32 s60, 0x100, s80                                  // 00000000B638: 803C50FF 00000100
	s_cmp_lt_u32 s60, s81                                      // 00000000B640: BF0A513C
	s_cselect_b32 s83, s83, 0                                  // 00000000B644: 85538053
	v_mfma_i32_16x16x32_i8 v[168:171], a[150:151], a[62:63], v[168:171]// 00000000B648: D3D700A8 1EA27D96
	s_add_u32 s24, s58, s24                                    // 00000000B650: 8018183A
	s_addc_u32 s25, 0, s25                                     // 00000000B654: 82191980
	v_mfma_i32_16x16x32_i8 v[184:187], a[152:153], a[56:57], v[184:187]// 00000000B658: D3D700B8 1EE27198
	s_add_u32 s20, s57, s20                                    // 00000000B660: 80141439
	s_addc_u32 s21, 0, s21                                     // 00000000B664: 82151580
	v_mfma_i32_16x16x32_i8 v[184:187], a[154:155], a[58:59], v[184:187]// 00000000B668: D3D700B8 1EE2759A
	s_add_u32 s84, s83, s84                                    // 00000000B670: 80545453
	s_addc_u32 s85, 0, s85                                     // 00000000B674: 82555580
	v_mfma_i32_16x16x32_i8 v[184:187], a[156:157], a[60:61], v[184:187]// 00000000B678: D3D700B8 1EE2799C
	v_mfma_i32_16x16x32_i8 v[184:187], a[158:159], a[62:63], v[184:187]// 00000000B680: D3D700B8 1EE27D9E
	s_addk_i32 s80, 0x80                                       // 00000000B688: B7500080
	s_cmp_lt_i32 s80, s81                                      // 00000000B68C: BF045150
	s_cbranch_scc0 label_2329                                  // 00000000B690: BF840001
	s_branch label_1ABE                                        // 00000000B694: BF82F795

000000000000b698 <label_2329>:
	v_cvt_f32_i32_e32 v60, v60                                 // 00000000B698: 7E780B3C
	v_cvt_f32_i32_e32 v61, v61                                 // 00000000B69C: 7E7A0B3D
	v_cvt_f32_i32_e32 v62, v62                                 // 00000000B6A0: 7E7C0B3E
	v_cvt_f32_i32_e32 v63, v63                                 // 00000000B6A4: 7E7E0B3F
	v_mul_f32_dpp v60, v24, v60 row_newbcast:0 row_mask:0xf bank_mask:0xf// 00000000B6A8: 0A7878FA FF015018
	v_mul_f32_dpp v61, v24, v61 row_newbcast:1 row_mask:0xf bank_mask:0xf// 00000000B6B0: 0A7A7AFA FF015118
	v_mul_f32_dpp v62, v24, v62 row_newbcast:2 row_mask:0xf bank_mask:0xf// 00000000B6B8: 0A7C7CFA FF015218
	v_mul_f32_dpp v63, v24, v63 row_newbcast:3 row_mask:0xf bank_mask:0xf// 00000000B6C0: 0A7E7EFA FF015318
	v_cvt_f32_i32_e32 v64, v64                                 // 00000000B6C8: 7E800B40
	v_cvt_f32_i32_e32 v65, v65                                 // 00000000B6CC: 7E820B41
	v_cvt_f32_i32_e32 v66, v66                                 // 00000000B6D0: 7E840B42
	v_cvt_f32_i32_e32 v67, v67                                 // 00000000B6D4: 7E860B43
	v_mul_f32_dpp v64, v24, v64 row_newbcast:0 row_mask:0xf bank_mask:0xf// 00000000B6D8: 0A8080FA FF015018
	v_mul_f32_dpp v65, v24, v65 row_newbcast:1 row_mask:0xf bank_mask:0xf// 00000000B6E0: 0A8282FA FF015118
	v_mul_f32_dpp v66, v24, v66 row_newbcast:2 row_mask:0xf bank_mask:0xf// 00000000B6E8: 0A8484FA FF015218
	v_mul_f32_dpp v67, v24, v67 row_newbcast:3 row_mask:0xf bank_mask:0xf// 00000000B6F0: 0A8686FA FF015318
	v_cvt_f32_i32_e32 v68, v68                                 // 00000000B6F8: 7E880B44
	v_cvt_f32_i32_e32 v69, v69                                 // 00000000B6FC: 7E8A0B45
	v_cvt_f32_i32_e32 v70, v70                                 // 00000000B700: 7E8C0B46
	v_cvt_f32_i32_e32 v71, v71                                 // 00000000B704: 7E8E0B47
	v_mul_f32_dpp v68, v24, v68 row_newbcast:0 row_mask:0xf bank_mask:0xf// 00000000B708: 0A8888FA FF015018
	v_mul_f32_dpp v69, v24, v69 row_newbcast:1 row_mask:0xf bank_mask:0xf// 00000000B710: 0A8A8AFA FF015118
	v_mul_f32_dpp v70, v24, v70 row_newbcast:2 row_mask:0xf bank_mask:0xf// 00000000B718: 0A8C8CFA FF015218
	v_mul_f32_dpp v71, v24, v71 row_newbcast:3 row_mask:0xf bank_mask:0xf// 00000000B720: 0A8E8EFA FF015318
	v_cvt_f32_i32_e32 v72, v72                                 // 00000000B728: 7E900B48
	v_cvt_f32_i32_e32 v73, v73                                 // 00000000B72C: 7E920B49
	v_cvt_f32_i32_e32 v74, v74                                 // 00000000B730: 7E940B4A
	v_cvt_f32_i32_e32 v75, v75                                 // 00000000B734: 7E960B4B
	v_mul_f32_dpp v72, v24, v72 row_newbcast:0 row_mask:0xf bank_mask:0xf// 00000000B738: 0A9090FA FF015018
	v_mul_f32_dpp v73, v24, v73 row_newbcast:1 row_mask:0xf bank_mask:0xf// 00000000B740: 0A9292FA FF015118
	v_mul_f32_dpp v74, v24, v74 row_newbcast:2 row_mask:0xf bank_mask:0xf// 00000000B748: 0A9494FA FF015218
	v_mul_f32_dpp v75, v24, v75 row_newbcast:3 row_mask:0xf bank_mask:0xf// 00000000B750: 0A9696FA FF015318
	v_cvt_f32_i32_e32 v76, v76                                 // 00000000B758: 7E980B4C
	v_cvt_f32_i32_e32 v77, v77                                 // 00000000B75C: 7E9A0B4D
	v_cvt_f32_i32_e32 v78, v78                                 // 00000000B760: 7E9C0B4E
	v_cvt_f32_i32_e32 v79, v79                                 // 00000000B764: 7E9E0B4F
	v_mul_f32_dpp v76, v24, v76 row_newbcast:4 row_mask:0xf bank_mask:0xf// 00000000B768: 0A9898FA FF015418
	v_mul_f32_dpp v77, v24, v77 row_newbcast:5 row_mask:0xf bank_mask:0xf// 00000000B770: 0A9A9AFA FF015518
	v_mul_f32_dpp v78, v24, v78 row_newbcast:6 row_mask:0xf bank_mask:0xf// 00000000B778: 0A9C9CFA FF015618
	v_mul_f32_dpp v79, v24, v79 row_newbcast:7 row_mask:0xf bank_mask:0xf// 00000000B780: 0A9E9EFA FF015718
	v_cvt_f32_i32_e32 v80, v80                                 // 00000000B788: 7EA00B50
	v_cvt_f32_i32_e32 v81, v81                                 // 00000000B78C: 7EA20B51
	v_cvt_f32_i32_e32 v82, v82                                 // 00000000B790: 7EA40B52
	v_cvt_f32_i32_e32 v83, v83                                 // 00000000B794: 7EA60B53
	v_mul_f32_dpp v80, v24, v80 row_newbcast:4 row_mask:0xf bank_mask:0xf// 00000000B798: 0AA0A0FA FF015418
	v_mul_f32_dpp v81, v24, v81 row_newbcast:5 row_mask:0xf bank_mask:0xf// 00000000B7A0: 0AA2A2FA FF015518
	v_mul_f32_dpp v82, v24, v82 row_newbcast:6 row_mask:0xf bank_mask:0xf// 00000000B7A8: 0AA4A4FA FF015618
	v_mul_f32_dpp v83, v24, v83 row_newbcast:7 row_mask:0xf bank_mask:0xf// 00000000B7B0: 0AA6A6FA FF015718
	v_cvt_f32_i32_e32 v84, v84                                 // 00000000B7B8: 7EA80B54
	v_cvt_f32_i32_e32 v85, v85                                 // 00000000B7BC: 7EAA0B55
	v_cvt_f32_i32_e32 v86, v86                                 // 00000000B7C0: 7EAC0B56
	v_cvt_f32_i32_e32 v87, v87                                 // 00000000B7C4: 7EAE0B57
	v_mul_f32_dpp v84, v24, v84 row_newbcast:4 row_mask:0xf bank_mask:0xf// 00000000B7C8: 0AA8A8FA FF015418
	v_mul_f32_dpp v85, v24, v85 row_newbcast:5 row_mask:0xf bank_mask:0xf// 00000000B7D0: 0AAAAAFA FF015518
	v_mul_f32_dpp v86, v24, v86 row_newbcast:6 row_mask:0xf bank_mask:0xf// 00000000B7D8: 0AACACFA FF015618
	v_mul_f32_dpp v87, v24, v87 row_newbcast:7 row_mask:0xf bank_mask:0xf// 00000000B7E0: 0AAEAEFA FF015718
	v_cvt_f32_i32_e32 v88, v88                                 // 00000000B7E8: 7EB00B58
	v_cvt_f32_i32_e32 v89, v89                                 // 00000000B7EC: 7EB20B59
	v_cvt_f32_i32_e32 v90, v90                                 // 00000000B7F0: 7EB40B5A
	v_cvt_f32_i32_e32 v91, v91                                 // 00000000B7F4: 7EB60B5B
	v_mul_f32_dpp v88, v24, v88 row_newbcast:4 row_mask:0xf bank_mask:0xf// 00000000B7F8: 0AB0B0FA FF015418
	v_mul_f32_dpp v89, v24, v89 row_newbcast:5 row_mask:0xf bank_mask:0xf// 00000000B800: 0AB2B2FA FF015518
	v_mul_f32_dpp v90, v24, v90 row_newbcast:6 row_mask:0xf bank_mask:0xf// 00000000B808: 0AB4B4FA FF015618
	v_mul_f32_dpp v91, v24, v91 row_newbcast:7 row_mask:0xf bank_mask:0xf// 00000000B810: 0AB6B6FA FF015718
	v_cvt_f32_i32_e32 v92, v92                                 // 00000000B818: 7EB80B5C
	v_cvt_f32_i32_e32 v93, v93                                 // 00000000B81C: 7EBA0B5D
	v_cvt_f32_i32_e32 v94, v94                                 // 00000000B820: 7EBC0B5E
	v_cvt_f32_i32_e32 v95, v95                                 // 00000000B824: 7EBE0B5F
	v_mul_f32_dpp v92, v24, v92 row_newbcast:8 row_mask:0xf bank_mask:0xf// 00000000B828: 0AB8B8FA FF015818
	v_mul_f32_dpp v93, v24, v93 row_newbcast:9 row_mask:0xf bank_mask:0xf// 00000000B830: 0ABABAFA FF015918
	v_mul_f32_dpp v94, v24, v94 row_newbcast:10 row_mask:0xf bank_mask:0xf// 00000000B838: 0ABCBCFA FF015A18
	v_mul_f32_dpp v95, v24, v95 row_newbcast:11 row_mask:0xf bank_mask:0xf// 00000000B840: 0ABEBEFA FF015B18
	v_cvt_f32_i32_e32 v96, v96                                 // 00000000B848: 7EC00B60
	v_cvt_f32_i32_e32 v97, v97                                 // 00000000B84C: 7EC20B61
	v_cvt_f32_i32_e32 v98, v98                                 // 00000000B850: 7EC40B62
	v_cvt_f32_i32_e32 v99, v99                                 // 00000000B854: 7EC60B63
	v_mul_f32_dpp v96, v24, v96 row_newbcast:8 row_mask:0xf bank_mask:0xf// 00000000B858: 0AC0C0FA FF015818
	v_mul_f32_dpp v97, v24, v97 row_newbcast:9 row_mask:0xf bank_mask:0xf// 00000000B860: 0AC2C2FA FF015918
	v_mul_f32_dpp v98, v24, v98 row_newbcast:10 row_mask:0xf bank_mask:0xf// 00000000B868: 0AC4C4FA FF015A18
	v_mul_f32_dpp v99, v24, v99 row_newbcast:11 row_mask:0xf bank_mask:0xf// 00000000B870: 0AC6C6FA FF015B18
	v_cvt_f32_i32_e32 v100, v100                               // 00000000B878: 7EC80B64
	v_cvt_f32_i32_e32 v101, v101                               // 00000000B87C: 7ECA0B65
	v_cvt_f32_i32_e32 v102, v102                               // 00000000B880: 7ECC0B66
	v_cvt_f32_i32_e32 v103, v103                               // 00000000B884: 7ECE0B67
	v_mul_f32_dpp v100, v24, v100 row_newbcast:8 row_mask:0xf bank_mask:0xf// 00000000B888: 0AC8C8FA FF015818
	v_mul_f32_dpp v101, v24, v101 row_newbcast:9 row_mask:0xf bank_mask:0xf// 00000000B890: 0ACACAFA FF015918
	v_mul_f32_dpp v102, v24, v102 row_newbcast:10 row_mask:0xf bank_mask:0xf// 00000000B898: 0ACCCCFA FF015A18
	v_mul_f32_dpp v103, v24, v103 row_newbcast:11 row_mask:0xf bank_mask:0xf// 00000000B8A0: 0ACECEFA FF015B18
	v_cvt_f32_i32_e32 v104, v104                               // 00000000B8A8: 7ED00B68
	v_cvt_f32_i32_e32 v105, v105                               // 00000000B8AC: 7ED20B69
	v_cvt_f32_i32_e32 v106, v106                               // 00000000B8B0: 7ED40B6A
	v_cvt_f32_i32_e32 v107, v107                               // 00000000B8B4: 7ED60B6B
	v_mul_f32_dpp v104, v24, v104 row_newbcast:8 row_mask:0xf bank_mask:0xf// 00000000B8B8: 0AD0D0FA FF015818
	v_mul_f32_dpp v105, v24, v105 row_newbcast:9 row_mask:0xf bank_mask:0xf// 00000000B8C0: 0AD2D2FA FF015918
	v_mul_f32_dpp v106, v24, v106 row_newbcast:10 row_mask:0xf bank_mask:0xf// 00000000B8C8: 0AD4D4FA FF015A18
	v_mul_f32_dpp v107, v24, v107 row_newbcast:11 row_mask:0xf bank_mask:0xf// 00000000B8D0: 0AD6D6FA FF015B18
	v_cvt_f32_i32_e32 v108, v108                               // 00000000B8D8: 7ED80B6C
	v_cvt_f32_i32_e32 v109, v109                               // 00000000B8DC: 7EDA0B6D
	v_cvt_f32_i32_e32 v110, v110                               // 00000000B8E0: 7EDC0B6E
	v_cvt_f32_i32_e32 v111, v111                               // 00000000B8E4: 7EDE0B6F
	v_mul_f32_dpp v108, v24, v108 row_newbcast:12 row_mask:0xf bank_mask:0xf// 00000000B8E8: 0AD8D8FA FF015C18
	v_mul_f32_dpp v109, v24, v109 row_newbcast:13 row_mask:0xf bank_mask:0xf// 00000000B8F0: 0ADADAFA FF015D18
	v_mul_f32_dpp v110, v24, v110 row_newbcast:14 row_mask:0xf bank_mask:0xf// 00000000B8F8: 0ADCDCFA FF015E18
	v_mul_f32_dpp v111, v24, v111 row_newbcast:15 row_mask:0xf bank_mask:0xf// 00000000B900: 0ADEDEFA FF015F18
	v_cvt_f32_i32_e32 v112, v112                               // 00000000B908: 7EE00B70
	v_cvt_f32_i32_e32 v113, v113                               // 00000000B90C: 7EE20B71
	v_cvt_f32_i32_e32 v114, v114                               // 00000000B910: 7EE40B72
	v_cvt_f32_i32_e32 v115, v115                               // 00000000B914: 7EE60B73
	v_mul_f32_dpp v112, v24, v112 row_newbcast:12 row_mask:0xf bank_mask:0xf// 00000000B918: 0AE0E0FA FF015C18
	v_mul_f32_dpp v113, v24, v113 row_newbcast:13 row_mask:0xf bank_mask:0xf// 00000000B920: 0AE2E2FA FF015D18
	v_mul_f32_dpp v114, v24, v114 row_newbcast:14 row_mask:0xf bank_mask:0xf// 00000000B928: 0AE4E4FA FF015E18
	v_mul_f32_dpp v115, v24, v115 row_newbcast:15 row_mask:0xf bank_mask:0xf// 00000000B930: 0AE6E6FA FF015F18
	v_cvt_f32_i32_e32 v116, v116                               // 00000000B938: 7EE80B74
	v_cvt_f32_i32_e32 v117, v117                               // 00000000B93C: 7EEA0B75
	v_cvt_f32_i32_e32 v118, v118                               // 00000000B940: 7EEC0B76
	v_cvt_f32_i32_e32 v119, v119                               // 00000000B944: 7EEE0B77
	v_mul_f32_dpp v116, v24, v116 row_newbcast:12 row_mask:0xf bank_mask:0xf// 00000000B948: 0AE8E8FA FF015C18
	v_mul_f32_dpp v117, v24, v117 row_newbcast:13 row_mask:0xf bank_mask:0xf// 00000000B950: 0AEAEAFA FF015D18
	v_mul_f32_dpp v118, v24, v118 row_newbcast:14 row_mask:0xf bank_mask:0xf// 00000000B958: 0AECECFA FF015E18
	v_mul_f32_dpp v119, v24, v119 row_newbcast:15 row_mask:0xf bank_mask:0xf// 00000000B960: 0AEEEEFA FF015F18
	v_cvt_f32_i32_e32 v120, v120                               // 00000000B968: 7EF00B78
	v_cvt_f32_i32_e32 v121, v121                               // 00000000B96C: 7EF20B79
	v_cvt_f32_i32_e32 v122, v122                               // 00000000B970: 7EF40B7A
	v_cvt_f32_i32_e32 v123, v123                               // 00000000B974: 7EF60B7B
	v_mul_f32_dpp v120, v24, v120 row_newbcast:12 row_mask:0xf bank_mask:0xf// 00000000B978: 0AF0F0FA FF015C18
	v_mul_f32_dpp v121, v24, v121 row_newbcast:13 row_mask:0xf bank_mask:0xf// 00000000B980: 0AF2F2FA FF015D18
	v_mul_f32_dpp v122, v24, v122 row_newbcast:14 row_mask:0xf bank_mask:0xf// 00000000B988: 0AF4F4FA FF015E18
	v_mul_f32_dpp v123, v24, v123 row_newbcast:15 row_mask:0xf bank_mask:0xf// 00000000B990: 0AF6F6FA FF015F18
	v_cvt_f32_i32_e32 v124, v124                               // 00000000B998: 7EF80B7C
	v_cvt_f32_i32_e32 v125, v125                               // 00000000B99C: 7EFA0B7D
	v_cvt_f32_i32_e32 v126, v126                               // 00000000B9A0: 7EFC0B7E
	v_cvt_f32_i32_e32 v127, v127                               // 00000000B9A4: 7EFE0B7F
	v_mul_f32_dpp v124, v27, v124 row_newbcast:0 row_mask:0xf bank_mask:0xf// 00000000B9A8: 0AF8F8FA FF01501B
	v_mul_f32_dpp v125, v27, v125 row_newbcast:1 row_mask:0xf bank_mask:0xf// 00000000B9B0: 0AFAFAFA FF01511B
	v_mul_f32_dpp v126, v27, v126 row_newbcast:2 row_mask:0xf bank_mask:0xf// 00000000B9B8: 0AFCFCFA FF01521B
	v_mul_f32_dpp v127, v27, v127 row_newbcast:3 row_mask:0xf bank_mask:0xf// 00000000B9C0: 0AFEFEFA FF01531B
	v_cvt_f32_i32_e32 v128, v128                               // 00000000B9C8: 7F000B80
	v_cvt_f32_i32_e32 v129, v129                               // 00000000B9CC: 7F020B81
	v_cvt_f32_i32_e32 v130, v130                               // 00000000B9D0: 7F040B82
	v_cvt_f32_i32_e32 v131, v131                               // 00000000B9D4: 7F060B83
	v_mul_f32_dpp v128, v27, v128 row_newbcast:0 row_mask:0xf bank_mask:0xf// 00000000B9D8: 0B0100FA FF01501B
	v_mul_f32_dpp v129, v27, v129 row_newbcast:1 row_mask:0xf bank_mask:0xf// 00000000B9E0: 0B0302FA FF01511B
	v_mul_f32_dpp v130, v27, v130 row_newbcast:2 row_mask:0xf bank_mask:0xf// 00000000B9E8: 0B0504FA FF01521B
	v_mul_f32_dpp v131, v27, v131 row_newbcast:3 row_mask:0xf bank_mask:0xf// 00000000B9F0: 0B0706FA FF01531B
	v_cvt_f32_i32_e32 v132, v132                               // 00000000B9F8: 7F080B84
	v_cvt_f32_i32_e32 v133, v133                               // 00000000B9FC: 7F0A0B85
	v_cvt_f32_i32_e32 v134, v134                               // 00000000BA00: 7F0C0B86
	v_cvt_f32_i32_e32 v135, v135                               // 00000000BA04: 7F0E0B87
	v_mul_f32_dpp v132, v27, v132 row_newbcast:0 row_mask:0xf bank_mask:0xf// 00000000BA08: 0B0908FA FF01501B
	v_mul_f32_dpp v133, v27, v133 row_newbcast:1 row_mask:0xf bank_mask:0xf// 00000000BA10: 0B0B0AFA FF01511B
	v_mul_f32_dpp v134, v27, v134 row_newbcast:2 row_mask:0xf bank_mask:0xf// 00000000BA18: 0B0D0CFA FF01521B
	v_mul_f32_dpp v135, v27, v135 row_newbcast:3 row_mask:0xf bank_mask:0xf// 00000000BA20: 0B0F0EFA FF01531B
	v_cvt_f32_i32_e32 v136, v136                               // 00000000BA28: 7F100B88
	v_cvt_f32_i32_e32 v137, v137                               // 00000000BA2C: 7F120B89
	v_cvt_f32_i32_e32 v138, v138                               // 00000000BA30: 7F140B8A
	v_cvt_f32_i32_e32 v139, v139                               // 00000000BA34: 7F160B8B
	v_mul_f32_dpp v136, v27, v136 row_newbcast:0 row_mask:0xf bank_mask:0xf// 00000000BA38: 0B1110FA FF01501B
	v_mul_f32_dpp v137, v27, v137 row_newbcast:1 row_mask:0xf bank_mask:0xf// 00000000BA40: 0B1312FA FF01511B
	v_mul_f32_dpp v138, v27, v138 row_newbcast:2 row_mask:0xf bank_mask:0xf// 00000000BA48: 0B1514FA FF01521B
	v_mul_f32_dpp v139, v27, v139 row_newbcast:3 row_mask:0xf bank_mask:0xf// 00000000BA50: 0B1716FA FF01531B
	v_cvt_f32_i32_e32 v140, v140                               // 00000000BA58: 7F180B8C
	v_cvt_f32_i32_e32 v141, v141                               // 00000000BA5C: 7F1A0B8D
	v_cvt_f32_i32_e32 v142, v142                               // 00000000BA60: 7F1C0B8E
	v_cvt_f32_i32_e32 v143, v143                               // 00000000BA64: 7F1E0B8F
	v_mul_f32_dpp v140, v27, v140 row_newbcast:4 row_mask:0xf bank_mask:0xf// 00000000BA68: 0B1918FA FF01541B
	v_mul_f32_dpp v141, v27, v141 row_newbcast:5 row_mask:0xf bank_mask:0xf// 00000000BA70: 0B1B1AFA FF01551B
	v_mul_f32_dpp v142, v27, v142 row_newbcast:6 row_mask:0xf bank_mask:0xf// 00000000BA78: 0B1D1CFA FF01561B
	v_mul_f32_dpp v143, v27, v143 row_newbcast:7 row_mask:0xf bank_mask:0xf// 00000000BA80: 0B1F1EFA FF01571B
	v_cvt_f32_i32_e32 v144, v144                               // 00000000BA88: 7F200B90
	v_cvt_f32_i32_e32 v145, v145                               // 00000000BA8C: 7F220B91
	v_cvt_f32_i32_e32 v146, v146                               // 00000000BA90: 7F240B92
	v_cvt_f32_i32_e32 v147, v147                               // 00000000BA94: 7F260B93
	v_mul_f32_dpp v144, v27, v144 row_newbcast:4 row_mask:0xf bank_mask:0xf// 00000000BA98: 0B2120FA FF01541B
	v_mul_f32_dpp v145, v27, v145 row_newbcast:5 row_mask:0xf bank_mask:0xf// 00000000BAA0: 0B2322FA FF01551B
	v_mul_f32_dpp v146, v27, v146 row_newbcast:6 row_mask:0xf bank_mask:0xf// 00000000BAA8: 0B2524FA FF01561B
	v_mul_f32_dpp v147, v27, v147 row_newbcast:7 row_mask:0xf bank_mask:0xf// 00000000BAB0: 0B2726FA FF01571B
	v_cvt_f32_i32_e32 v148, v148                               // 00000000BAB8: 7F280B94
	v_cvt_f32_i32_e32 v149, v149                               // 00000000BABC: 7F2A0B95
	v_cvt_f32_i32_e32 v150, v150                               // 00000000BAC0: 7F2C0B96
	v_cvt_f32_i32_e32 v151, v151                               // 00000000BAC4: 7F2E0B97
	v_mul_f32_dpp v148, v27, v148 row_newbcast:4 row_mask:0xf bank_mask:0xf// 00000000BAC8: 0B2928FA FF01541B
	v_mul_f32_dpp v149, v27, v149 row_newbcast:5 row_mask:0xf bank_mask:0xf// 00000000BAD0: 0B2B2AFA FF01551B
	v_mul_f32_dpp v150, v27, v150 row_newbcast:6 row_mask:0xf bank_mask:0xf// 00000000BAD8: 0B2D2CFA FF01561B
	v_mul_f32_dpp v151, v27, v151 row_newbcast:7 row_mask:0xf bank_mask:0xf// 00000000BAE0: 0B2F2EFA FF01571B
	v_cvt_f32_i32_e32 v152, v152                               // 00000000BAE8: 7F300B98
	v_cvt_f32_i32_e32 v153, v153                               // 00000000BAEC: 7F320B99
	v_cvt_f32_i32_e32 v154, v154                               // 00000000BAF0: 7F340B9A
	v_cvt_f32_i32_e32 v155, v155                               // 00000000BAF4: 7F360B9B
	v_mul_f32_dpp v152, v27, v152 row_newbcast:4 row_mask:0xf bank_mask:0xf// 00000000BAF8: 0B3130FA FF01541B
	v_mul_f32_dpp v153, v27, v153 row_newbcast:5 row_mask:0xf bank_mask:0xf// 00000000BB00: 0B3332FA FF01551B
	v_mul_f32_dpp v154, v27, v154 row_newbcast:6 row_mask:0xf bank_mask:0xf// 00000000BB08: 0B3534FA FF01561B
	v_mul_f32_dpp v155, v27, v155 row_newbcast:7 row_mask:0xf bank_mask:0xf// 00000000BB10: 0B3736FA FF01571B
	v_cvt_f32_i32_e32 v156, v156                               // 00000000BB18: 7F380B9C
	v_cvt_f32_i32_e32 v157, v157                               // 00000000BB1C: 7F3A0B9D
	v_cvt_f32_i32_e32 v158, v158                               // 00000000BB20: 7F3C0B9E
	v_cvt_f32_i32_e32 v159, v159                               // 00000000BB24: 7F3E0B9F
	v_mul_f32_dpp v156, v27, v156 row_newbcast:8 row_mask:0xf bank_mask:0xf// 00000000BB28: 0B3938FA FF01581B
	v_mul_f32_dpp v157, v27, v157 row_newbcast:9 row_mask:0xf bank_mask:0xf// 00000000BB30: 0B3B3AFA FF01591B
	v_mul_f32_dpp v158, v27, v158 row_newbcast:10 row_mask:0xf bank_mask:0xf// 00000000BB38: 0B3D3CFA FF015A1B
	v_mul_f32_dpp v159, v27, v159 row_newbcast:11 row_mask:0xf bank_mask:0xf// 00000000BB40: 0B3F3EFA FF015B1B
	v_cvt_f32_i32_e32 v160, v160                               // 00000000BB48: 7F400BA0
	v_cvt_f32_i32_e32 v161, v161                               // 00000000BB4C: 7F420BA1
	v_cvt_f32_i32_e32 v162, v162                               // 00000000BB50: 7F440BA2
	v_cvt_f32_i32_e32 v163, v163                               // 00000000BB54: 7F460BA3
	v_mul_f32_dpp v160, v27, v160 row_newbcast:8 row_mask:0xf bank_mask:0xf// 00000000BB58: 0B4140FA FF01581B
	v_mul_f32_dpp v161, v27, v161 row_newbcast:9 row_mask:0xf bank_mask:0xf// 00000000BB60: 0B4342FA FF01591B
	v_mul_f32_dpp v162, v27, v162 row_newbcast:10 row_mask:0xf bank_mask:0xf// 00000000BB68: 0B4544FA FF015A1B
	v_mul_f32_dpp v163, v27, v163 row_newbcast:11 row_mask:0xf bank_mask:0xf// 00000000BB70: 0B4746FA FF015B1B
	v_cvt_f32_i32_e32 v164, v164                               // 00000000BB78: 7F480BA4
	v_cvt_f32_i32_e32 v165, v165                               // 00000000BB7C: 7F4A0BA5
	v_cvt_f32_i32_e32 v166, v166                               // 00000000BB80: 7F4C0BA6
	v_cvt_f32_i32_e32 v167, v167                               // 00000000BB84: 7F4E0BA7
	v_mul_f32_dpp v164, v27, v164 row_newbcast:8 row_mask:0xf bank_mask:0xf// 00000000BB88: 0B4948FA FF01581B
	v_mul_f32_dpp v165, v27, v165 row_newbcast:9 row_mask:0xf bank_mask:0xf// 00000000BB90: 0B4B4AFA FF01591B
	v_mul_f32_dpp v166, v27, v166 row_newbcast:10 row_mask:0xf bank_mask:0xf// 00000000BB98: 0B4D4CFA FF015A1B
	v_mul_f32_dpp v167, v27, v167 row_newbcast:11 row_mask:0xf bank_mask:0xf// 00000000BBA0: 0B4F4EFA FF015B1B
	v_cvt_f32_i32_e32 v168, v168                               // 00000000BBA8: 7F500BA8
	v_cvt_f32_i32_e32 v169, v169                               // 00000000BBAC: 7F520BA9
	v_cvt_f32_i32_e32 v170, v170                               // 00000000BBB0: 7F540BAA
	v_cvt_f32_i32_e32 v171, v171                               // 00000000BBB4: 7F560BAB
	v_mul_f32_dpp v168, v27, v168 row_newbcast:8 row_mask:0xf bank_mask:0xf// 00000000BBB8: 0B5150FA FF01581B
	v_mul_f32_dpp v169, v27, v169 row_newbcast:9 row_mask:0xf bank_mask:0xf// 00000000BBC0: 0B5352FA FF01591B
	v_mul_f32_dpp v170, v27, v170 row_newbcast:10 row_mask:0xf bank_mask:0xf// 00000000BBC8: 0B5554FA FF015A1B
	v_mul_f32_dpp v171, v27, v171 row_newbcast:11 row_mask:0xf bank_mask:0xf// 00000000BBD0: 0B5756FA FF015B1B
	v_cvt_f32_i32_e32 v172, v172                               // 00000000BBD8: 7F580BAC
	v_cvt_f32_i32_e32 v173, v173                               // 00000000BBDC: 7F5A0BAD
	v_cvt_f32_i32_e32 v174, v174                               // 00000000BBE0: 7F5C0BAE
	v_cvt_f32_i32_e32 v175, v175                               // 00000000BBE4: 7F5E0BAF
	v_mul_f32_dpp v172, v27, v172 row_newbcast:12 row_mask:0xf bank_mask:0xf// 00000000BBE8: 0B5958FA FF015C1B
	v_mul_f32_dpp v173, v27, v173 row_newbcast:13 row_mask:0xf bank_mask:0xf// 00000000BBF0: 0B5B5AFA FF015D1B
	v_mul_f32_dpp v174, v27, v174 row_newbcast:14 row_mask:0xf bank_mask:0xf// 00000000BBF8: 0B5D5CFA FF015E1B
	v_mul_f32_dpp v175, v27, v175 row_newbcast:15 row_mask:0xf bank_mask:0xf// 00000000BC00: 0B5F5EFA FF015F1B
	v_cvt_f32_i32_e32 v176, v176                               // 00000000BC08: 7F600BB0
	v_cvt_f32_i32_e32 v177, v177                               // 00000000BC0C: 7F620BB1
	v_cvt_f32_i32_e32 v178, v178                               // 00000000BC10: 7F640BB2
	v_cvt_f32_i32_e32 v179, v179                               // 00000000BC14: 7F660BB3
	v_mul_f32_dpp v176, v27, v176 row_newbcast:12 row_mask:0xf bank_mask:0xf// 00000000BC18: 0B6160FA FF015C1B
	v_mul_f32_dpp v177, v27, v177 row_newbcast:13 row_mask:0xf bank_mask:0xf// 00000000BC20: 0B6362FA FF015D1B
	v_mul_f32_dpp v178, v27, v178 row_newbcast:14 row_mask:0xf bank_mask:0xf// 00000000BC28: 0B6564FA FF015E1B
	v_mul_f32_dpp v179, v27, v179 row_newbcast:15 row_mask:0xf bank_mask:0xf// 00000000BC30: 0B6766FA FF015F1B
	v_cvt_f32_i32_e32 v180, v180                               // 00000000BC38: 7F680BB4
	v_cvt_f32_i32_e32 v181, v181                               // 00000000BC3C: 7F6A0BB5
	v_cvt_f32_i32_e32 v182, v182                               // 00000000BC40: 7F6C0BB6
	v_cvt_f32_i32_e32 v183, v183                               // 00000000BC44: 7F6E0BB7
	v_mul_f32_dpp v180, v27, v180 row_newbcast:12 row_mask:0xf bank_mask:0xf// 00000000BC48: 0B6968FA FF015C1B
	v_mul_f32_dpp v181, v27, v181 row_newbcast:13 row_mask:0xf bank_mask:0xf// 00000000BC50: 0B6B6AFA FF015D1B
	v_mul_f32_dpp v182, v27, v182 row_newbcast:14 row_mask:0xf bank_mask:0xf// 00000000BC58: 0B6D6CFA FF015E1B
	v_mul_f32_dpp v183, v27, v183 row_newbcast:15 row_mask:0xf bank_mask:0xf// 00000000BC60: 0B6F6EFA FF015F1B
	v_cvt_f32_i32_e32 v184, v184                               // 00000000BC68: 7F700BB8
	v_cvt_f32_i32_e32 v185, v185                               // 00000000BC6C: 7F720BB9
	v_cvt_f32_i32_e32 v186, v186                               // 00000000BC70: 7F740BBA
	v_cvt_f32_i32_e32 v187, v187                               // 00000000BC74: 7F760BBB
	v_mul_f32_dpp v184, v27, v184 row_newbcast:12 row_mask:0xf bank_mask:0xf// 00000000BC78: 0B7170FA FF015C1B
	v_mul_f32_dpp v185, v27, v185 row_newbcast:13 row_mask:0xf bank_mask:0xf// 00000000BC80: 0B7372FA FF015D1B
	v_mul_f32_dpp v186, v27, v186 row_newbcast:14 row_mask:0xf bank_mask:0xf// 00000000BC88: 0B7574FA FF015E1B
	v_mul_f32_dpp v187, v27, v187 row_newbcast:15 row_mask:0xf bank_mask:0xf// 00000000BC90: 0B7776FA FF015F1B
	v_mov_b32_e32 v4, v34                                      // 00000000BC98: 7E080322
	v_mov_b32_e32 v5, v4                                       // 00000000BC9C: 7E0A0304
	v_pk_mul_f32 v[60:61], v[4:5], v[60:61]                    // 00000000BCA0: D3B1403C 18027904
	v_pk_mul_f32 v[124:125], v[4:5], v[124:125]                // 00000000BCA8: D3B1407C 1802F904
	v_pk_mul_f32 v[62:63], v[4:5], v[62:63]                    // 00000000BCB0: D3B1403E 18027D04
	v_pk_mul_f32 v[126:127], v[4:5], v[126:127]                // 00000000BCB8: D3B1407E 1802FD04
	v_pk_mul_f32 v[76:77], v[4:5], v[76:77]                    // 00000000BCC0: D3B1404C 18029904
	v_pk_mul_f32 v[140:141], v[4:5], v[140:141]                // 00000000BCC8: D3B1408C 18031904
	v_pk_mul_f32 v[78:79], v[4:5], v[78:79]                    // 00000000BCD0: D3B1404E 18029D04
	v_pk_mul_f32 v[142:143], v[4:5], v[142:143]                // 00000000BCD8: D3B1408E 18031D04
	v_pk_mul_f32 v[92:93], v[4:5], v[92:93]                    // 00000000BCE0: D3B1405C 1802B904
	v_pk_mul_f32 v[156:157], v[4:5], v[156:157]                // 00000000BCE8: D3B1409C 18033904
	v_pk_mul_f32 v[94:95], v[4:5], v[94:95]                    // 00000000BCF0: D3B1405E 1802BD04
	v_pk_mul_f32 v[158:159], v[4:5], v[158:159]                // 00000000BCF8: D3B1409E 18033D04
	v_pk_mul_f32 v[108:109], v[4:5], v[108:109]                // 00000000BD00: D3B1406C 1802D904
	v_pk_mul_f32 v[172:173], v[4:5], v[172:173]                // 00000000BD08: D3B140AC 18035904
	v_pk_mul_f32 v[110:111], v[4:5], v[110:111]                // 00000000BD10: D3B1406E 1802DD04
	v_pk_mul_f32 v[174:175], v[4:5], v[174:175]                // 00000000BD18: D3B140AE 18035D04
	v_mov_b32_e32 v4, v35                                      // 00000000BD20: 7E080323
	v_mov_b32_e32 v5, v4                                       // 00000000BD24: 7E0A0304
	v_pk_mul_f32 v[64:65], v[4:5], v[64:65]                    // 00000000BD28: D3B14040 18028104
	v_pk_mul_f32 v[128:129], v[4:5], v[128:129]                // 00000000BD30: D3B14080 18030104
	v_pk_mul_f32 v[66:67], v[4:5], v[66:67]                    // 00000000BD38: D3B14042 18028504
	v_pk_mul_f32 v[130:131], v[4:5], v[130:131]                // 00000000BD40: D3B14082 18030504
	v_pk_mul_f32 v[80:81], v[4:5], v[80:81]                    // 00000000BD48: D3B14050 1802A104
	v_pk_mul_f32 v[144:145], v[4:5], v[144:145]                // 00000000BD50: D3B14090 18032104
	v_pk_mul_f32 v[82:83], v[4:5], v[82:83]                    // 00000000BD58: D3B14052 1802A504
	v_pk_mul_f32 v[146:147], v[4:5], v[146:147]                // 00000000BD60: D3B14092 18032504
	v_pk_mul_f32 v[96:97], v[4:5], v[96:97]                    // 00000000BD68: D3B14060 1802C104
	v_pk_mul_f32 v[160:161], v[4:5], v[160:161]                // 00000000BD70: D3B140A0 18034104
	v_pk_mul_f32 v[98:99], v[4:5], v[98:99]                    // 00000000BD78: D3B14062 1802C504
	v_pk_mul_f32 v[162:163], v[4:5], v[162:163]                // 00000000BD80: D3B140A2 18034504
	v_pk_mul_f32 v[112:113], v[4:5], v[112:113]                // 00000000BD88: D3B14070 1802E104
	v_pk_mul_f32 v[176:177], v[4:5], v[176:177]                // 00000000BD90: D3B140B0 18036104
	v_pk_mul_f32 v[114:115], v[4:5], v[114:115]                // 00000000BD98: D3B14072 1802E504
	v_pk_mul_f32 v[178:179], v[4:5], v[178:179]                // 00000000BDA0: D3B140B2 18036504
	v_mov_b32_e32 v4, v36                                      // 00000000BDA8: 7E080324
	v_mov_b32_e32 v5, v4                                       // 00000000BDAC: 7E0A0304
	v_pk_mul_f32 v[68:69], v[4:5], v[68:69]                    // 00000000BDB0: D3B14044 18028904
	v_pk_mul_f32 v[132:133], v[4:5], v[132:133]                // 00000000BDB8: D3B14084 18030904
	v_pk_mul_f32 v[70:71], v[4:5], v[70:71]                    // 00000000BDC0: D3B14046 18028D04
	v_pk_mul_f32 v[134:135], v[4:5], v[134:135]                // 00000000BDC8: D3B14086 18030D04
	v_pk_mul_f32 v[84:85], v[4:5], v[84:85]                    // 00000000BDD0: D3B14054 1802A904
	v_pk_mul_f32 v[148:149], v[4:5], v[148:149]                // 00000000BDD8: D3B14094 18032904
	v_pk_mul_f32 v[86:87], v[4:5], v[86:87]                    // 00000000BDE0: D3B14056 1802AD04
	v_pk_mul_f32 v[150:151], v[4:5], v[150:151]                // 00000000BDE8: D3B14096 18032D04
	v_pk_mul_f32 v[100:101], v[4:5], v[100:101]                // 00000000BDF0: D3B14064 1802C904
	v_pk_mul_f32 v[164:165], v[4:5], v[164:165]                // 00000000BDF8: D3B140A4 18034904
	v_pk_mul_f32 v[102:103], v[4:5], v[102:103]                // 00000000BE00: D3B14066 1802CD04
	v_pk_mul_f32 v[166:167], v[4:5], v[166:167]                // 00000000BE08: D3B140A6 18034D04
	v_pk_mul_f32 v[116:117], v[4:5], v[116:117]                // 00000000BE10: D3B14074 1802E904
	v_pk_mul_f32 v[180:181], v[4:5], v[180:181]                // 00000000BE18: D3B140B4 18036904
	v_pk_mul_f32 v[118:119], v[4:5], v[118:119]                // 00000000BE20: D3B14076 1802ED04
	v_pk_mul_f32 v[182:183], v[4:5], v[182:183]                // 00000000BE28: D3B140B6 18036D04
	v_mov_b32_e32 v4, v37                                      // 00000000BE30: 7E080325
	v_mov_b32_e32 v5, v4                                       // 00000000BE34: 7E0A0304
	v_pk_mul_f32 v[72:73], v[4:5], v[72:73]                    // 00000000BE38: D3B14048 18029104
	v_pk_mul_f32 v[136:137], v[4:5], v[136:137]                // 00000000BE40: D3B14088 18031104
	v_pk_mul_f32 v[74:75], v[4:5], v[74:75]                    // 00000000BE48: D3B1404A 18029504
	v_pk_mul_f32 v[138:139], v[4:5], v[138:139]                // 00000000BE50: D3B1408A 18031504
	v_pk_mul_f32 v[88:89], v[4:5], v[88:89]                    // 00000000BE58: D3B14058 1802B104
	v_pk_mul_f32 v[152:153], v[4:5], v[152:153]                // 00000000BE60: D3B14098 18033104
	v_pk_mul_f32 v[90:91], v[4:5], v[90:91]                    // 00000000BE68: D3B1405A 1802B504
	v_pk_mul_f32 v[154:155], v[4:5], v[154:155]                // 00000000BE70: D3B1409A 18033504
	v_pk_mul_f32 v[104:105], v[4:5], v[104:105]                // 00000000BE78: D3B14068 1802D104
	v_pk_mul_f32 v[168:169], v[4:5], v[168:169]                // 00000000BE80: D3B140A8 18035104
	v_pk_mul_f32 v[106:107], v[4:5], v[106:107]                // 00000000BE88: D3B1406A 1802D504
	v_pk_mul_f32 v[170:171], v[4:5], v[170:171]                // 00000000BE90: D3B140AA 18035504
	v_pk_mul_f32 v[120:121], v[4:5], v[120:121]                // 00000000BE98: D3B14078 1802F104
	v_pk_mul_f32 v[184:185], v[4:5], v[184:185]                // 00000000BEA0: D3B140B8 18037104
	v_pk_mul_f32 v[122:123], v[4:5], v[122:123]                // 00000000BEA8: D3B1407A 1802F504
	v_pk_mul_f32 v[186:187], v[4:5], v[186:187]                // 00000000BEB0: D3B140BA 18037504
	s_cmp_eq_u32 s88, 0                                        // 00000000BEB8: BF068058
	s_cbranch_scc0 label_2D64                                  // 00000000BEBC: BF840831
	s_cmp_eq_u32 s89, 0                                        // 00000000BEC0: BF068059
	s_cbranch_scc1 label_27BA                                  // 00000000BEC4: BF850285
	v_mov_b32_e32 v8, v1                                       // 00000000BEC8: 7E100301
	v_mov_b32_e32 v9, v1                                       // 00000000BECC: 7E120301
	s_mov_b32 s60, s6                                          // 00000000BED0: BEBC0006
	s_mov_b32 s61, s6                                          // 00000000BED4: BEBD0006
	v_pk_mul_f32 v[4:5], v[60:61], v[60:61]                    // 00000000BED8: D3B14004 1802793C
	v_pk_mul_f32 v[6:7], v[62:63], v[62:63]                    // 00000000BEE0: D3B14006 18027D3E
	v_pk_fma_f32 v[4:5], v[4:5], s[78:79], v[8:9]              // 00000000BEE8: D3B04004 1C209D04
	v_pk_fma_f32 v[6:7], v[6:7], s[78:79], v[8:9]              // 00000000BEF0: D3B04006 1C209D06
	v_pk_mul_f32 v[4:5], v[4:5], v[60:61]                      // 00000000BEF8: D3B14004 18027904
	v_pk_mul_f32 v[6:7], v[6:7], v[62:63]                      // 00000000BF00: D3B14006 18027D06
	v_pk_mul_f32 v[4:5], v[4:5], s[60:61]                      // 00000000BF08: D3B14004 18007904
	v_pk_mul_f32 v[6:7], v[6:7], s[60:61]                      // 00000000BF10: D3B14006 18007906
	v_exp_f32_e32 v4, v4                                       // 00000000BF18: 7E084104
	v_exp_f32_e32 v5, v5                                       // 00000000BF1C: 7E0A4105
	v_exp_f32_e32 v6, v6                                       // 00000000BF20: 7E0C4106
	v_exp_f32_e32 v7, v7                                       // 00000000BF24: 7E0E4107
	v_add_f32_e64 v4, v4, 1.0                                  // 00000000BF28: D1010004 0001E504
	v_add_f32_e64 v5, v5, 1.0                                  // 00000000BF30: D1010005 0001E505
	v_add_f32_e64 v6, v6, 1.0                                  // 00000000BF38: D1010006 0001E506
	v_add_f32_e64 v7, v7, 1.0                                  // 00000000BF40: D1010007 0001E507
	v_rcp_f32_e32 v4, v4                                       // 00000000BF48: 7E084504
	v_rcp_f32_e32 v5, v5                                       // 00000000BF4C: 7E0A4505
	v_rcp_f32_e32 v6, v6                                       // 00000000BF50: 7E0C4506
	v_rcp_f32_e32 v7, v7                                       // 00000000BF54: 7E0E4507
	v_mul_f32_e32 v60, v60, v4                                 // 00000000BF58: 0A78093C
	v_mul_f32_e32 v61, v61, v5                                 // 00000000BF5C: 0A7A0B3D
	v_mul_f32_e32 v62, v62, v6                                 // 00000000BF60: 0A7C0D3E
	v_mul_f32_e32 v63, v63, v7                                 // 00000000BF64: 0A7E0F3F
	v_mul_f32_e32 v60, v60, v124                               // 00000000BF68: 0A78F93C
	v_mul_f32_e32 v61, v61, v125                               // 00000000BF6C: 0A7AFB3D
	v_mul_f32_e32 v62, v62, v126                               // 00000000BF70: 0A7CFD3E
	v_mul_f32_e32 v63, v63, v127                               // 00000000BF74: 0A7EFF3F
	v_pk_mul_f32 v[4:5], v[64:65], v[64:65]                    // 00000000BF78: D3B14004 18028140
	v_pk_mul_f32 v[6:7], v[66:67], v[66:67]                    // 00000000BF80: D3B14006 18028542
	v_pk_fma_f32 v[4:5], v[4:5], s[78:79], v[8:9]              // 00000000BF88: D3B04004 1C209D04
	v_pk_fma_f32 v[6:7], v[6:7], s[78:79], v[8:9]              // 00000000BF90: D3B04006 1C209D06
	v_pk_mul_f32 v[4:5], v[4:5], v[64:65]                      // 00000000BF98: D3B14004 18028104
	v_pk_mul_f32 v[6:7], v[6:7], v[66:67]                      // 00000000BFA0: D3B14006 18028506
	v_pk_mul_f32 v[4:5], v[4:5], s[60:61]                      // 00000000BFA8: D3B14004 18007904
	v_pk_mul_f32 v[6:7], v[6:7], s[60:61]                      // 00000000BFB0: D3B14006 18007906
	v_exp_f32_e32 v4, v4                                       // 00000000BFB8: 7E084104
	v_exp_f32_e32 v5, v5                                       // 00000000BFBC: 7E0A4105
	v_exp_f32_e32 v6, v6                                       // 00000000BFC0: 7E0C4106
	v_exp_f32_e32 v7, v7                                       // 00000000BFC4: 7E0E4107
	v_add_f32_e64 v4, v4, 1.0                                  // 00000000BFC8: D1010004 0001E504
	v_add_f32_e64 v5, v5, 1.0                                  // 00000000BFD0: D1010005 0001E505
	v_add_f32_e64 v6, v6, 1.0                                  // 00000000BFD8: D1010006 0001E506
	v_add_f32_e64 v7, v7, 1.0                                  // 00000000BFE0: D1010007 0001E507
	v_rcp_f32_e32 v4, v4                                       // 00000000BFE8: 7E084504
	v_rcp_f32_e32 v5, v5                                       // 00000000BFEC: 7E0A4505
	v_rcp_f32_e32 v6, v6                                       // 00000000BFF0: 7E0C4506
	v_rcp_f32_e32 v7, v7                                       // 00000000BFF4: 7E0E4507
	v_mul_f32_e32 v64, v64, v4                                 // 00000000BFF8: 0A800940
	v_mul_f32_e32 v65, v65, v5                                 // 00000000BFFC: 0A820B41
	v_mul_f32_e32 v66, v66, v6                                 // 00000000C000: 0A840D42
	v_mul_f32_e32 v67, v67, v7                                 // 00000000C004: 0A860F43
	v_mul_f32_e32 v64, v64, v128                               // 00000000C008: 0A810140
	v_mul_f32_e32 v65, v65, v129                               // 00000000C00C: 0A830341
	v_mul_f32_e32 v66, v66, v130                               // 00000000C010: 0A850542
	v_mul_f32_e32 v67, v67, v131                               // 00000000C014: 0A870743
	v_pk_mul_f32 v[4:5], v[68:69], v[68:69]                    // 00000000C018: D3B14004 18028944
	v_pk_mul_f32 v[6:7], v[70:71], v[70:71]                    // 00000000C020: D3B14006 18028D46
	v_pk_fma_f32 v[4:5], v[4:5], s[78:79], v[8:9]              // 00000000C028: D3B04004 1C209D04
	v_pk_fma_f32 v[6:7], v[6:7], s[78:79], v[8:9]              // 00000000C030: D3B04006 1C209D06
	v_pk_mul_f32 v[4:5], v[4:5], v[68:69]                      // 00000000C038: D3B14004 18028904
	v_pk_mul_f32 v[6:7], v[6:7], v[70:71]                      // 00000000C040: D3B14006 18028D06
	v_pk_mul_f32 v[4:5], v[4:5], s[60:61]                      // 00000000C048: D3B14004 18007904
	v_pk_mul_f32 v[6:7], v[6:7], s[60:61]                      // 00000000C050: D3B14006 18007906
	v_exp_f32_e32 v4, v4                                       // 00000000C058: 7E084104
	v_exp_f32_e32 v5, v5                                       // 00000000C05C: 7E0A4105
	v_exp_f32_e32 v6, v6                                       // 00000000C060: 7E0C4106
	v_exp_f32_e32 v7, v7                                       // 00000000C064: 7E0E4107
	v_add_f32_e64 v4, v4, 1.0                                  // 00000000C068: D1010004 0001E504
	v_add_f32_e64 v5, v5, 1.0                                  // 00000000C070: D1010005 0001E505
	v_add_f32_e64 v6, v6, 1.0                                  // 00000000C078: D1010006 0001E506
	v_add_f32_e64 v7, v7, 1.0                                  // 00000000C080: D1010007 0001E507
	v_rcp_f32_e32 v4, v4                                       // 00000000C088: 7E084504
	v_rcp_f32_e32 v5, v5                                       // 00000000C08C: 7E0A4505
	v_rcp_f32_e32 v6, v6                                       // 00000000C090: 7E0C4506
	v_rcp_f32_e32 v7, v7                                       // 00000000C094: 7E0E4507
	v_mul_f32_e32 v68, v68, v4                                 // 00000000C098: 0A880944
	v_mul_f32_e32 v69, v69, v5                                 // 00000000C09C: 0A8A0B45
	v_mul_f32_e32 v70, v70, v6                                 // 00000000C0A0: 0A8C0D46
	v_mul_f32_e32 v71, v71, v7                                 // 00000000C0A4: 0A8E0F47
	v_mul_f32_e32 v68, v68, v132                               // 00000000C0A8: 0A890944
	v_mul_f32_e32 v69, v69, v133                               // 00000000C0AC: 0A8B0B45
	v_mul_f32_e32 v70, v70, v134                               // 00000000C0B0: 0A8D0D46
	v_mul_f32_e32 v71, v71, v135                               // 00000000C0B4: 0A8F0F47
	v_pk_mul_f32 v[4:5], v[72:73], v[72:73]                    // 00000000C0B8: D3B14004 18029148
	v_pk_mul_f32 v[6:7], v[74:75], v[74:75]                    // 00000000C0C0: D3B14006 1802954A
	v_pk_fma_f32 v[4:5], v[4:5], s[78:79], v[8:9]              // 00000000C0C8: D3B04004 1C209D04
	v_pk_fma_f32 v[6:7], v[6:7], s[78:79], v[8:9]              // 00000000C0D0: D3B04006 1C209D06
	v_pk_mul_f32 v[4:5], v[4:5], v[72:73]                      // 00000000C0D8: D3B14004 18029104
	v_pk_mul_f32 v[6:7], v[6:7], v[74:75]                      // 00000000C0E0: D3B14006 18029506
	v_pk_mul_f32 v[4:5], v[4:5], s[60:61]                      // 00000000C0E8: D3B14004 18007904
	v_pk_mul_f32 v[6:7], v[6:7], s[60:61]                      // 00000000C0F0: D3B14006 18007906
	v_exp_f32_e32 v4, v4                                       // 00000000C0F8: 7E084104
	v_exp_f32_e32 v5, v5                                       // 00000000C0FC: 7E0A4105
	v_exp_f32_e32 v6, v6                                       // 00000000C100: 7E0C4106
	v_exp_f32_e32 v7, v7                                       // 00000000C104: 7E0E4107
	v_add_f32_e64 v4, v4, 1.0                                  // 00000000C108: D1010004 0001E504
	v_add_f32_e64 v5, v5, 1.0                                  // 00000000C110: D1010005 0001E505
	v_add_f32_e64 v6, v6, 1.0                                  // 00000000C118: D1010006 0001E506
	v_add_f32_e64 v7, v7, 1.0                                  // 00000000C120: D1010007 0001E507
	v_rcp_f32_e32 v4, v4                                       // 00000000C128: 7E084504
	v_rcp_f32_e32 v5, v5                                       // 00000000C12C: 7E0A4505
	v_rcp_f32_e32 v6, v6                                       // 00000000C130: 7E0C4506
	v_rcp_f32_e32 v7, v7                                       // 00000000C134: 7E0E4507
	v_mul_f32_e32 v72, v72, v4                                 // 00000000C138: 0A900948
	v_mul_f32_e32 v73, v73, v5                                 // 00000000C13C: 0A920B49
	v_mul_f32_e32 v74, v74, v6                                 // 00000000C140: 0A940D4A
	v_mul_f32_e32 v75, v75, v7                                 // 00000000C144: 0A960F4B
	v_mul_f32_e32 v72, v72, v136                               // 00000000C148: 0A911148
	v_mul_f32_e32 v73, v73, v137                               // 00000000C14C: 0A931349
	v_mul_f32_e32 v74, v74, v138                               // 00000000C150: 0A95154A
	v_mul_f32_e32 v75, v75, v139                               // 00000000C154: 0A97174B
	v_pk_mul_f32 v[4:5], v[76:77], v[76:77]                    // 00000000C158: D3B14004 1802994C
	v_pk_mul_f32 v[6:7], v[78:79], v[78:79]                    // 00000000C160: D3B14006 18029D4E
	v_pk_fma_f32 v[4:5], v[4:5], s[78:79], v[8:9]              // 00000000C168: D3B04004 1C209D04
	v_pk_fma_f32 v[6:7], v[6:7], s[78:79], v[8:9]              // 00000000C170: D3B04006 1C209D06
	v_pk_mul_f32 v[4:5], v[4:5], v[76:77]                      // 00000000C178: D3B14004 18029904
	v_pk_mul_f32 v[6:7], v[6:7], v[78:79]                      // 00000000C180: D3B14006 18029D06
	v_pk_mul_f32 v[4:5], v[4:5], s[60:61]                      // 00000000C188: D3B14004 18007904
	v_pk_mul_f32 v[6:7], v[6:7], s[60:61]                      // 00000000C190: D3B14006 18007906
	v_exp_f32_e32 v4, v4                                       // 00000000C198: 7E084104
	v_exp_f32_e32 v5, v5                                       // 00000000C19C: 7E0A4105
	v_exp_f32_e32 v6, v6                                       // 00000000C1A0: 7E0C4106
	v_exp_f32_e32 v7, v7                                       // 00000000C1A4: 7E0E4107
	v_add_f32_e64 v4, v4, 1.0                                  // 00000000C1A8: D1010004 0001E504
	v_add_f32_e64 v5, v5, 1.0                                  // 00000000C1B0: D1010005 0001E505
	v_add_f32_e64 v6, v6, 1.0                                  // 00000000C1B8: D1010006 0001E506
	v_add_f32_e64 v7, v7, 1.0                                  // 00000000C1C0: D1010007 0001E507
	v_rcp_f32_e32 v4, v4                                       // 00000000C1C8: 7E084504
	v_rcp_f32_e32 v5, v5                                       // 00000000C1CC: 7E0A4505
	v_rcp_f32_e32 v6, v6                                       // 00000000C1D0: 7E0C4506
	v_rcp_f32_e32 v7, v7                                       // 00000000C1D4: 7E0E4507
	v_mul_f32_e32 v76, v76, v4                                 // 00000000C1D8: 0A98094C
	v_mul_f32_e32 v77, v77, v5                                 // 00000000C1DC: 0A9A0B4D
	v_mul_f32_e32 v78, v78, v6                                 // 00000000C1E0: 0A9C0D4E
	v_mul_f32_e32 v79, v79, v7                                 // 00000000C1E4: 0A9E0F4F
	v_mul_f32_e32 v76, v76, v140                               // 00000000C1E8: 0A99194C
	v_mul_f32_e32 v77, v77, v141                               // 00000000C1EC: 0A9B1B4D
	v_mul_f32_e32 v78, v78, v142                               // 00000000C1F0: 0A9D1D4E
	v_mul_f32_e32 v79, v79, v143                               // 00000000C1F4: 0A9F1F4F
	v_pk_mul_f32 v[4:5], v[80:81], v[80:81]                    // 00000000C1F8: D3B14004 1802A150
	v_pk_mul_f32 v[6:7], v[82:83], v[82:83]                    // 00000000C200: D3B14006 1802A552
	v_pk_fma_f32 v[4:5], v[4:5], s[78:79], v[8:9]              // 00000000C208: D3B04004 1C209D04
	v_pk_fma_f32 v[6:7], v[6:7], s[78:79], v[8:9]              // 00000000C210: D3B04006 1C209D06
	v_pk_mul_f32 v[4:5], v[4:5], v[80:81]                      // 00000000C218: D3B14004 1802A104
	v_pk_mul_f32 v[6:7], v[6:7], v[82:83]                      // 00000000C220: D3B14006 1802A506
	v_pk_mul_f32 v[4:5], v[4:5], s[60:61]                      // 00000000C228: D3B14004 18007904
	v_pk_mul_f32 v[6:7], v[6:7], s[60:61]                      // 00000000C230: D3B14006 18007906
	v_exp_f32_e32 v4, v4                                       // 00000000C238: 7E084104
	v_exp_f32_e32 v5, v5                                       // 00000000C23C: 7E0A4105
	v_exp_f32_e32 v6, v6                                       // 00000000C240: 7E0C4106
	v_exp_f32_e32 v7, v7                                       // 00000000C244: 7E0E4107
	v_add_f32_e64 v4, v4, 1.0                                  // 00000000C248: D1010004 0001E504
	v_add_f32_e64 v5, v5, 1.0                                  // 00000000C250: D1010005 0001E505
	v_add_f32_e64 v6, v6, 1.0                                  // 00000000C258: D1010006 0001E506
	v_add_f32_e64 v7, v7, 1.0                                  // 00000000C260: D1010007 0001E507
	v_rcp_f32_e32 v4, v4                                       // 00000000C268: 7E084504
	v_rcp_f32_e32 v5, v5                                       // 00000000C26C: 7E0A4505
	v_rcp_f32_e32 v6, v6                                       // 00000000C270: 7E0C4506
	v_rcp_f32_e32 v7, v7                                       // 00000000C274: 7E0E4507
	v_mul_f32_e32 v80, v80, v4                                 // 00000000C278: 0AA00950
	v_mul_f32_e32 v81, v81, v5                                 // 00000000C27C: 0AA20B51
	v_mul_f32_e32 v82, v82, v6                                 // 00000000C280: 0AA40D52
	v_mul_f32_e32 v83, v83, v7                                 // 00000000C284: 0AA60F53
	v_mul_f32_e32 v80, v80, v144                               // 00000000C288: 0AA12150
	v_mul_f32_e32 v81, v81, v145                               // 00000000C28C: 0AA32351
	v_mul_f32_e32 v82, v82, v146                               // 00000000C290: 0AA52552
	v_mul_f32_e32 v83, v83, v147                               // 00000000C294: 0AA72753
	v_pk_mul_f32 v[4:5], v[84:85], v[84:85]                    // 00000000C298: D3B14004 1802A954
	v_pk_mul_f32 v[6:7], v[86:87], v[86:87]                    // 00000000C2A0: D3B14006 1802AD56
	v_pk_fma_f32 v[4:5], v[4:5], s[78:79], v[8:9]              // 00000000C2A8: D3B04004 1C209D04
	v_pk_fma_f32 v[6:7], v[6:7], s[78:79], v[8:9]              // 00000000C2B0: D3B04006 1C209D06
	v_pk_mul_f32 v[4:5], v[4:5], v[84:85]                      // 00000000C2B8: D3B14004 1802A904
	v_pk_mul_f32 v[6:7], v[6:7], v[86:87]                      // 00000000C2C0: D3B14006 1802AD06
	v_pk_mul_f32 v[4:5], v[4:5], s[60:61]                      // 00000000C2C8: D3B14004 18007904
	v_pk_mul_f32 v[6:7], v[6:7], s[60:61]                      // 00000000C2D0: D3B14006 18007906
	v_exp_f32_e32 v4, v4                                       // 00000000C2D8: 7E084104
	v_exp_f32_e32 v5, v5                                       // 00000000C2DC: 7E0A4105
	v_exp_f32_e32 v6, v6                                       // 00000000C2E0: 7E0C4106
	v_exp_f32_e32 v7, v7                                       // 00000000C2E4: 7E0E4107
	v_add_f32_e64 v4, v4, 1.0                                  // 00000000C2E8: D1010004 0001E504
	v_add_f32_e64 v5, v5, 1.0                                  // 00000000C2F0: D1010005 0001E505
	v_add_f32_e64 v6, v6, 1.0                                  // 00000000C2F8: D1010006 0001E506
	v_add_f32_e64 v7, v7, 1.0                                  // 00000000C300: D1010007 0001E507
	v_rcp_f32_e32 v4, v4                                       // 00000000C308: 7E084504
	v_rcp_f32_e32 v5, v5                                       // 00000000C30C: 7E0A4505
	v_rcp_f32_e32 v6, v6                                       // 00000000C310: 7E0C4506
	v_rcp_f32_e32 v7, v7                                       // 00000000C314: 7E0E4507
	v_mul_f32_e32 v84, v84, v4                                 // 00000000C318: 0AA80954
	v_mul_f32_e32 v85, v85, v5                                 // 00000000C31C: 0AAA0B55
	v_mul_f32_e32 v86, v86, v6                                 // 00000000C320: 0AAC0D56
	v_mul_f32_e32 v87, v87, v7                                 // 00000000C324: 0AAE0F57
	v_mul_f32_e32 v84, v84, v148                               // 00000000C328: 0AA92954
	v_mul_f32_e32 v85, v85, v149                               // 00000000C32C: 0AAB2B55
	v_mul_f32_e32 v86, v86, v150                               // 00000000C330: 0AAD2D56
	v_mul_f32_e32 v87, v87, v151                               // 00000000C334: 0AAF2F57
	v_pk_mul_f32 v[4:5], v[88:89], v[88:89]                    // 00000000C338: D3B14004 1802B158
	v_pk_mul_f32 v[6:7], v[90:91], v[90:91]                    // 00000000C340: D3B14006 1802B55A
	v_pk_fma_f32 v[4:5], v[4:5], s[78:79], v[8:9]              // 00000000C348: D3B04004 1C209D04
	v_pk_fma_f32 v[6:7], v[6:7], s[78:79], v[8:9]              // 00000000C350: D3B04006 1C209D06
	v_pk_mul_f32 v[4:5], v[4:5], v[88:89]                      // 00000000C358: D3B14004 1802B104
	v_pk_mul_f32 v[6:7], v[6:7], v[90:91]                      // 00000000C360: D3B14006 1802B506
	v_pk_mul_f32 v[4:5], v[4:5], s[60:61]                      // 00000000C368: D3B14004 18007904
	v_pk_mul_f32 v[6:7], v[6:7], s[60:61]                      // 00000000C370: D3B14006 18007906
	v_exp_f32_e32 v4, v4                                       // 00000000C378: 7E084104
	v_exp_f32_e32 v5, v5                                       // 00000000C37C: 7E0A4105
	v_exp_f32_e32 v6, v6                                       // 00000000C380: 7E0C4106
	v_exp_f32_e32 v7, v7                                       // 00000000C384: 7E0E4107
	v_add_f32_e64 v4, v4, 1.0                                  // 00000000C388: D1010004 0001E504
	v_add_f32_e64 v5, v5, 1.0                                  // 00000000C390: D1010005 0001E505
	v_add_f32_e64 v6, v6, 1.0                                  // 00000000C398: D1010006 0001E506
	v_add_f32_e64 v7, v7, 1.0                                  // 00000000C3A0: D1010007 0001E507
	v_rcp_f32_e32 v4, v4                                       // 00000000C3A8: 7E084504
	v_rcp_f32_e32 v5, v5                                       // 00000000C3AC: 7E0A4505
	v_rcp_f32_e32 v6, v6                                       // 00000000C3B0: 7E0C4506
	v_rcp_f32_e32 v7, v7                                       // 00000000C3B4: 7E0E4507
	v_mul_f32_e32 v88, v88, v4                                 // 00000000C3B8: 0AB00958
	v_mul_f32_e32 v89, v89, v5                                 // 00000000C3BC: 0AB20B59
	v_mul_f32_e32 v90, v90, v6                                 // 00000000C3C0: 0AB40D5A
	v_mul_f32_e32 v91, v91, v7                                 // 00000000C3C4: 0AB60F5B
	v_mul_f32_e32 v88, v88, v152                               // 00000000C3C8: 0AB13158
	v_mul_f32_e32 v89, v89, v153                               // 00000000C3CC: 0AB33359
	v_mul_f32_e32 v90, v90, v154                               // 00000000C3D0: 0AB5355A
	v_mul_f32_e32 v91, v91, v155                               // 00000000C3D4: 0AB7375B
	v_pk_mul_f32 v[4:5], v[92:93], v[92:93]                    // 00000000C3D8: D3B14004 1802B95C
	v_pk_mul_f32 v[6:7], v[94:95], v[94:95]                    // 00000000C3E0: D3B14006 1802BD5E
	v_pk_fma_f32 v[4:5], v[4:5], s[78:79], v[8:9]              // 00000000C3E8: D3B04004 1C209D04
	v_pk_fma_f32 v[6:7], v[6:7], s[78:79], v[8:9]              // 00000000C3F0: D3B04006 1C209D06
	v_pk_mul_f32 v[4:5], v[4:5], v[92:93]                      // 00000000C3F8: D3B14004 1802B904
	v_pk_mul_f32 v[6:7], v[6:7], v[94:95]                      // 00000000C400: D3B14006 1802BD06
	v_pk_mul_f32 v[4:5], v[4:5], s[60:61]                      // 00000000C408: D3B14004 18007904
	v_pk_mul_f32 v[6:7], v[6:7], s[60:61]                      // 00000000C410: D3B14006 18007906
	v_exp_f32_e32 v4, v4                                       // 00000000C418: 7E084104
	v_exp_f32_e32 v5, v5                                       // 00000000C41C: 7E0A4105
	v_exp_f32_e32 v6, v6                                       // 00000000C420: 7E0C4106
	v_exp_f32_e32 v7, v7                                       // 00000000C424: 7E0E4107
	v_add_f32_e64 v4, v4, 1.0                                  // 00000000C428: D1010004 0001E504
	v_add_f32_e64 v5, v5, 1.0                                  // 00000000C430: D1010005 0001E505
	v_add_f32_e64 v6, v6, 1.0                                  // 00000000C438: D1010006 0001E506
	v_add_f32_e64 v7, v7, 1.0                                  // 00000000C440: D1010007 0001E507
	v_rcp_f32_e32 v4, v4                                       // 00000000C448: 7E084504
	v_rcp_f32_e32 v5, v5                                       // 00000000C44C: 7E0A4505
	v_rcp_f32_e32 v6, v6                                       // 00000000C450: 7E0C4506
	v_rcp_f32_e32 v7, v7                                       // 00000000C454: 7E0E4507
	v_mul_f32_e32 v92, v92, v4                                 // 00000000C458: 0AB8095C
	v_mul_f32_e32 v93, v93, v5                                 // 00000000C45C: 0ABA0B5D
	v_mul_f32_e32 v94, v94, v6                                 // 00000000C460: 0ABC0D5E
	v_mul_f32_e32 v95, v95, v7                                 // 00000000C464: 0ABE0F5F
	v_mul_f32_e32 v92, v92, v156                               // 00000000C468: 0AB9395C
	v_mul_f32_e32 v93, v93, v157                               // 00000000C46C: 0ABB3B5D
	v_mul_f32_e32 v94, v94, v158                               // 00000000C470: 0ABD3D5E
	v_mul_f32_e32 v95, v95, v159                               // 00000000C474: 0ABF3F5F
	v_pk_mul_f32 v[4:5], v[96:97], v[96:97]                    // 00000000C478: D3B14004 1802C160
	v_pk_mul_f32 v[6:7], v[98:99], v[98:99]                    // 00000000C480: D3B14006 1802C562
	v_pk_fma_f32 v[4:5], v[4:5], s[78:79], v[8:9]              // 00000000C488: D3B04004 1C209D04
	v_pk_fma_f32 v[6:7], v[6:7], s[78:79], v[8:9]              // 00000000C490: D3B04006 1C209D06
	v_pk_mul_f32 v[4:5], v[4:5], v[96:97]                      // 00000000C498: D3B14004 1802C104
	v_pk_mul_f32 v[6:7], v[6:7], v[98:99]                      // 00000000C4A0: D3B14006 1802C506
	v_pk_mul_f32 v[4:5], v[4:5], s[60:61]                      // 00000000C4A8: D3B14004 18007904
	v_pk_mul_f32 v[6:7], v[6:7], s[60:61]                      // 00000000C4B0: D3B14006 18007906
	v_exp_f32_e32 v4, v4                                       // 00000000C4B8: 7E084104
	v_exp_f32_e32 v5, v5                                       // 00000000C4BC: 7E0A4105
	v_exp_f32_e32 v6, v6                                       // 00000000C4C0: 7E0C4106
	v_exp_f32_e32 v7, v7                                       // 00000000C4C4: 7E0E4107
	v_add_f32_e64 v4, v4, 1.0                                  // 00000000C4C8: D1010004 0001E504
	v_add_f32_e64 v5, v5, 1.0                                  // 00000000C4D0: D1010005 0001E505
	v_add_f32_e64 v6, v6, 1.0                                  // 00000000C4D8: D1010006 0001E506
	v_add_f32_e64 v7, v7, 1.0                                  // 00000000C4E0: D1010007 0001E507
	v_rcp_f32_e32 v4, v4                                       // 00000000C4E8: 7E084504
	v_rcp_f32_e32 v5, v5                                       // 00000000C4EC: 7E0A4505
	v_rcp_f32_e32 v6, v6                                       // 00000000C4F0: 7E0C4506
	v_rcp_f32_e32 v7, v7                                       // 00000000C4F4: 7E0E4507
	v_mul_f32_e32 v96, v96, v4                                 // 00000000C4F8: 0AC00960
	v_mul_f32_e32 v97, v97, v5                                 // 00000000C4FC: 0AC20B61
	v_mul_f32_e32 v98, v98, v6                                 // 00000000C500: 0AC40D62
	v_mul_f32_e32 v99, v99, v7                                 // 00000000C504: 0AC60F63
	v_mul_f32_e32 v96, v96, v160                               // 00000000C508: 0AC14160
	v_mul_f32_e32 v97, v97, v161                               // 00000000C50C: 0AC34361
	v_mul_f32_e32 v98, v98, v162                               // 00000000C510: 0AC54562
	v_mul_f32_e32 v99, v99, v163                               // 00000000C514: 0AC74763
	v_pk_mul_f32 v[4:5], v[100:101], v[100:101]                // 00000000C518: D3B14004 1802C964
	v_pk_mul_f32 v[6:7], v[102:103], v[102:103]                // 00000000C520: D3B14006 1802CD66
	v_pk_fma_f32 v[4:5], v[4:5], s[78:79], v[8:9]              // 00000000C528: D3B04004 1C209D04
	v_pk_fma_f32 v[6:7], v[6:7], s[78:79], v[8:9]              // 00000000C530: D3B04006 1C209D06
	v_pk_mul_f32 v[4:5], v[4:5], v[100:101]                    // 00000000C538: D3B14004 1802C904
	v_pk_mul_f32 v[6:7], v[6:7], v[102:103]                    // 00000000C540: D3B14006 1802CD06
	v_pk_mul_f32 v[4:5], v[4:5], s[60:61]                      // 00000000C548: D3B14004 18007904
	v_pk_mul_f32 v[6:7], v[6:7], s[60:61]                      // 00000000C550: D3B14006 18007906
	v_exp_f32_e32 v4, v4                                       // 00000000C558: 7E084104
	v_exp_f32_e32 v5, v5                                       // 00000000C55C: 7E0A4105
	v_exp_f32_e32 v6, v6                                       // 00000000C560: 7E0C4106
	v_exp_f32_e32 v7, v7                                       // 00000000C564: 7E0E4107
	v_add_f32_e64 v4, v4, 1.0                                  // 00000000C568: D1010004 0001E504
	v_add_f32_e64 v5, v5, 1.0                                  // 00000000C570: D1010005 0001E505
	v_add_f32_e64 v6, v6, 1.0                                  // 00000000C578: D1010006 0001E506
	v_add_f32_e64 v7, v7, 1.0                                  // 00000000C580: D1010007 0001E507
	v_rcp_f32_e32 v4, v4                                       // 00000000C588: 7E084504
	v_rcp_f32_e32 v5, v5                                       // 00000000C58C: 7E0A4505
	v_rcp_f32_e32 v6, v6                                       // 00000000C590: 7E0C4506
	v_rcp_f32_e32 v7, v7                                       // 00000000C594: 7E0E4507
	v_mul_f32_e32 v100, v100, v4                               // 00000000C598: 0AC80964
	v_mul_f32_e32 v101, v101, v5                               // 00000000C59C: 0ACA0B65
	v_mul_f32_e32 v102, v102, v6                               // 00000000C5A0: 0ACC0D66
	v_mul_f32_e32 v103, v103, v7                               // 00000000C5A4: 0ACE0F67
	v_mul_f32_e32 v100, v100, v164                             // 00000000C5A8: 0AC94964
	v_mul_f32_e32 v101, v101, v165                             // 00000000C5AC: 0ACB4B65
	v_mul_f32_e32 v102, v102, v166                             // 00000000C5B0: 0ACD4D66
	v_mul_f32_e32 v103, v103, v167                             // 00000000C5B4: 0ACF4F67
	v_pk_mul_f32 v[4:5], v[104:105], v[104:105]                // 00000000C5B8: D3B14004 1802D168
	v_pk_mul_f32 v[6:7], v[106:107], v[106:107]                // 00000000C5C0: D3B14006 1802D56A
	v_pk_fma_f32 v[4:5], v[4:5], s[78:79], v[8:9]              // 00000000C5C8: D3B04004 1C209D04
	v_pk_fma_f32 v[6:7], v[6:7], s[78:79], v[8:9]              // 00000000C5D0: D3B04006 1C209D06
	v_pk_mul_f32 v[4:5], v[4:5], v[104:105]                    // 00000000C5D8: D3B14004 1802D104
	v_pk_mul_f32 v[6:7], v[6:7], v[106:107]                    // 00000000C5E0: D3B14006 1802D506
	v_pk_mul_f32 v[4:5], v[4:5], s[60:61]                      // 00000000C5E8: D3B14004 18007904
	v_pk_mul_f32 v[6:7], v[6:7], s[60:61]                      // 00000000C5F0: D3B14006 18007906
	v_exp_f32_e32 v4, v4                                       // 00000000C5F8: 7E084104
	v_exp_f32_e32 v5, v5                                       // 00000000C5FC: 7E0A4105
	v_exp_f32_e32 v6, v6                                       // 00000000C600: 7E0C4106
	v_exp_f32_e32 v7, v7                                       // 00000000C604: 7E0E4107
	v_add_f32_e64 v4, v4, 1.0                                  // 00000000C608: D1010004 0001E504
	v_add_f32_e64 v5, v5, 1.0                                  // 00000000C610: D1010005 0001E505
	v_add_f32_e64 v6, v6, 1.0                                  // 00000000C618: D1010006 0001E506
	v_add_f32_e64 v7, v7, 1.0                                  // 00000000C620: D1010007 0001E507
	v_rcp_f32_e32 v4, v4                                       // 00000000C628: 7E084504
	v_rcp_f32_e32 v5, v5                                       // 00000000C62C: 7E0A4505
	v_rcp_f32_e32 v6, v6                                       // 00000000C630: 7E0C4506
	v_rcp_f32_e32 v7, v7                                       // 00000000C634: 7E0E4507
	v_mul_f32_e32 v104, v104, v4                               // 00000000C638: 0AD00968
	v_mul_f32_e32 v105, v105, v5                               // 00000000C63C: 0AD20B69
	v_mul_f32_e32 v106, v106, v6                               // 00000000C640: 0AD40D6A
	v_mul_f32_e32 v107, v107, v7                               // 00000000C644: 0AD60F6B
	v_mul_f32_e32 v104, v104, v168                             // 00000000C648: 0AD15168
	v_mul_f32_e32 v105, v105, v169                             // 00000000C64C: 0AD35369
	v_mul_f32_e32 v106, v106, v170                             // 00000000C650: 0AD5556A
	v_mul_f32_e32 v107, v107, v171                             // 00000000C654: 0AD7576B
	v_pk_mul_f32 v[4:5], v[108:109], v[108:109]                // 00000000C658: D3B14004 1802D96C
	v_pk_mul_f32 v[6:7], v[110:111], v[110:111]                // 00000000C660: D3B14006 1802DD6E
	v_pk_fma_f32 v[4:5], v[4:5], s[78:79], v[8:9]              // 00000000C668: D3B04004 1C209D04
	v_pk_fma_f32 v[6:7], v[6:7], s[78:79], v[8:9]              // 00000000C670: D3B04006 1C209D06
	v_pk_mul_f32 v[4:5], v[4:5], v[108:109]                    // 00000000C678: D3B14004 1802D904
	v_pk_mul_f32 v[6:7], v[6:7], v[110:111]                    // 00000000C680: D3B14006 1802DD06
	v_pk_mul_f32 v[4:5], v[4:5], s[60:61]                      // 00000000C688: D3B14004 18007904
	v_pk_mul_f32 v[6:7], v[6:7], s[60:61]                      // 00000000C690: D3B14006 18007906
	v_exp_f32_e32 v4, v4                                       // 00000000C698: 7E084104
	v_exp_f32_e32 v5, v5                                       // 00000000C69C: 7E0A4105
	v_exp_f32_e32 v6, v6                                       // 00000000C6A0: 7E0C4106
	v_exp_f32_e32 v7, v7                                       // 00000000C6A4: 7E0E4107
	v_add_f32_e64 v4, v4, 1.0                                  // 00000000C6A8: D1010004 0001E504
	v_add_f32_e64 v5, v5, 1.0                                  // 00000000C6B0: D1010005 0001E505
	v_add_f32_e64 v6, v6, 1.0                                  // 00000000C6B8: D1010006 0001E506
	v_add_f32_e64 v7, v7, 1.0                                  // 00000000C6C0: D1010007 0001E507
	v_rcp_f32_e32 v4, v4                                       // 00000000C6C8: 7E084504
	v_rcp_f32_e32 v5, v5                                       // 00000000C6CC: 7E0A4505
	v_rcp_f32_e32 v6, v6                                       // 00000000C6D0: 7E0C4506
	v_rcp_f32_e32 v7, v7                                       // 00000000C6D4: 7E0E4507
	v_mul_f32_e32 v108, v108, v4                               // 00000000C6D8: 0AD8096C
	v_mul_f32_e32 v109, v109, v5                               // 00000000C6DC: 0ADA0B6D
	v_mul_f32_e32 v110, v110, v6                               // 00000000C6E0: 0ADC0D6E
	v_mul_f32_e32 v111, v111, v7                               // 00000000C6E4: 0ADE0F6F
	v_mul_f32_e32 v108, v108, v172                             // 00000000C6E8: 0AD9596C
	v_mul_f32_e32 v109, v109, v173                             // 00000000C6EC: 0ADB5B6D
	v_mul_f32_e32 v110, v110, v174                             // 00000000C6F0: 0ADD5D6E
	v_mul_f32_e32 v111, v111, v175                             // 00000000C6F4: 0ADF5F6F
	v_pk_mul_f32 v[4:5], v[112:113], v[112:113]                // 00000000C6F8: D3B14004 1802E170
	v_pk_mul_f32 v[6:7], v[114:115], v[114:115]                // 00000000C700: D3B14006 1802E572
	v_pk_fma_f32 v[4:5], v[4:5], s[78:79], v[8:9]              // 00000000C708: D3B04004 1C209D04
	v_pk_fma_f32 v[6:7], v[6:7], s[78:79], v[8:9]              // 00000000C710: D3B04006 1C209D06
	v_pk_mul_f32 v[4:5], v[4:5], v[112:113]                    // 00000000C718: D3B14004 1802E104
	v_pk_mul_f32 v[6:7], v[6:7], v[114:115]                    // 00000000C720: D3B14006 1802E506
	v_pk_mul_f32 v[4:5], v[4:5], s[60:61]                      // 00000000C728: D3B14004 18007904
	v_pk_mul_f32 v[6:7], v[6:7], s[60:61]                      // 00000000C730: D3B14006 18007906
	v_exp_f32_e32 v4, v4                                       // 00000000C738: 7E084104
	v_exp_f32_e32 v5, v5                                       // 00000000C73C: 7E0A4105
	v_exp_f32_e32 v6, v6                                       // 00000000C740: 7E0C4106
	v_exp_f32_e32 v7, v7                                       // 00000000C744: 7E0E4107
	v_add_f32_e64 v4, v4, 1.0                                  // 00000000C748: D1010004 0001E504
	v_add_f32_e64 v5, v5, 1.0                                  // 00000000C750: D1010005 0001E505
	v_add_f32_e64 v6, v6, 1.0                                  // 00000000C758: D1010006 0001E506
	v_add_f32_e64 v7, v7, 1.0                                  // 00000000C760: D1010007 0001E507
	v_rcp_f32_e32 v4, v4                                       // 00000000C768: 7E084504
	v_rcp_f32_e32 v5, v5                                       // 00000000C76C: 7E0A4505
	v_rcp_f32_e32 v6, v6                                       // 00000000C770: 7E0C4506
	v_rcp_f32_e32 v7, v7                                       // 00000000C774: 7E0E4507
	v_mul_f32_e32 v112, v112, v4                               // 00000000C778: 0AE00970
	v_mul_f32_e32 v113, v113, v5                               // 00000000C77C: 0AE20B71
	v_mul_f32_e32 v114, v114, v6                               // 00000000C780: 0AE40D72
	v_mul_f32_e32 v115, v115, v7                               // 00000000C784: 0AE60F73
	v_mul_f32_e32 v112, v112, v176                             // 00000000C788: 0AE16170
	v_mul_f32_e32 v113, v113, v177                             // 00000000C78C: 0AE36371
	v_mul_f32_e32 v114, v114, v178                             // 00000000C790: 0AE56572
	v_mul_f32_e32 v115, v115, v179                             // 00000000C794: 0AE76773
	v_pk_mul_f32 v[4:5], v[116:117], v[116:117]                // 00000000C798: D3B14004 1802E974
	v_pk_mul_f32 v[6:7], v[118:119], v[118:119]                // 00000000C7A0: D3B14006 1802ED76
	v_pk_fma_f32 v[4:5], v[4:5], s[78:79], v[8:9]              // 00000000C7A8: D3B04004 1C209D04
	v_pk_fma_f32 v[6:7], v[6:7], s[78:79], v[8:9]              // 00000000C7B0: D3B04006 1C209D06
	v_pk_mul_f32 v[4:5], v[4:5], v[116:117]                    // 00000000C7B8: D3B14004 1802E904
	v_pk_mul_f32 v[6:7], v[6:7], v[118:119]                    // 00000000C7C0: D3B14006 1802ED06
	v_pk_mul_f32 v[4:5], v[4:5], s[60:61]                      // 00000000C7C8: D3B14004 18007904
	v_pk_mul_f32 v[6:7], v[6:7], s[60:61]                      // 00000000C7D0: D3B14006 18007906
	v_exp_f32_e32 v4, v4                                       // 00000000C7D8: 7E084104
	v_exp_f32_e32 v5, v5                                       // 00000000C7DC: 7E0A4105
	v_exp_f32_e32 v6, v6                                       // 00000000C7E0: 7E0C4106
	v_exp_f32_e32 v7, v7                                       // 00000000C7E4: 7E0E4107
	v_add_f32_e64 v4, v4, 1.0                                  // 00000000C7E8: D1010004 0001E504
	v_add_f32_e64 v5, v5, 1.0                                  // 00000000C7F0: D1010005 0001E505
	v_add_f32_e64 v6, v6, 1.0                                  // 00000000C7F8: D1010006 0001E506
	v_add_f32_e64 v7, v7, 1.0                                  // 00000000C800: D1010007 0001E507
	v_rcp_f32_e32 v4, v4                                       // 00000000C808: 7E084504
	v_rcp_f32_e32 v5, v5                                       // 00000000C80C: 7E0A4505
	v_rcp_f32_e32 v6, v6                                       // 00000000C810: 7E0C4506
	v_rcp_f32_e32 v7, v7                                       // 00000000C814: 7E0E4507
	v_mul_f32_e32 v116, v116, v4                               // 00000000C818: 0AE80974
	v_mul_f32_e32 v117, v117, v5                               // 00000000C81C: 0AEA0B75
	v_mul_f32_e32 v118, v118, v6                               // 00000000C820: 0AEC0D76
	v_mul_f32_e32 v119, v119, v7                               // 00000000C824: 0AEE0F77
	v_mul_f32_e32 v116, v116, v180                             // 00000000C828: 0AE96974
	v_mul_f32_e32 v117, v117, v181                             // 00000000C82C: 0AEB6B75
	v_mul_f32_e32 v118, v118, v182                             // 00000000C830: 0AED6D76
	v_mul_f32_e32 v119, v119, v183                             // 00000000C834: 0AEF6F77
	v_pk_mul_f32 v[4:5], v[120:121], v[120:121]                // 00000000C838: D3B14004 1802F178
	v_pk_mul_f32 v[6:7], v[122:123], v[122:123]                // 00000000C840: D3B14006 1802F57A
	v_pk_fma_f32 v[4:5], v[4:5], s[78:79], v[8:9]              // 00000000C848: D3B04004 1C209D04
	v_pk_fma_f32 v[6:7], v[6:7], s[78:79], v[8:9]              // 00000000C850: D3B04006 1C209D06
	v_pk_mul_f32 v[4:5], v[4:5], v[120:121]                    // 00000000C858: D3B14004 1802F104
	v_pk_mul_f32 v[6:7], v[6:7], v[122:123]                    // 00000000C860: D3B14006 1802F506
	v_pk_mul_f32 v[4:5], v[4:5], s[60:61]                      // 00000000C868: D3B14004 18007904
	v_pk_mul_f32 v[6:7], v[6:7], s[60:61]                      // 00000000C870: D3B14006 18007906
	v_exp_f32_e32 v4, v4                                       // 00000000C878: 7E084104
	v_exp_f32_e32 v5, v5                                       // 00000000C87C: 7E0A4105
	v_exp_f32_e32 v6, v6                                       // 00000000C880: 7E0C4106
	v_exp_f32_e32 v7, v7                                       // 00000000C884: 7E0E4107
	v_add_f32_e64 v4, v4, 1.0                                  // 00000000C888: D1010004 0001E504
	v_add_f32_e64 v5, v5, 1.0                                  // 00000000C890: D1010005 0001E505
	v_add_f32_e64 v6, v6, 1.0                                  // 00000000C898: D1010006 0001E506
	v_add_f32_e64 v7, v7, 1.0                                  // 00000000C8A0: D1010007 0001E507
	v_rcp_f32_e32 v4, v4                                       // 00000000C8A8: 7E084504
	v_rcp_f32_e32 v5, v5                                       // 00000000C8AC: 7E0A4505
	v_rcp_f32_e32 v6, v6                                       // 00000000C8B0: 7E0C4506
	v_rcp_f32_e32 v7, v7                                       // 00000000C8B4: 7E0E4507
	v_mul_f32_e32 v120, v120, v4                               // 00000000C8B8: 0AF00978
	v_mul_f32_e32 v121, v121, v5                               // 00000000C8BC: 0AF20B79
	v_mul_f32_e32 v122, v122, v6                               // 00000000C8C0: 0AF40D7A
	v_mul_f32_e32 v123, v123, v7                               // 00000000C8C4: 0AF60F7B
	v_mul_f32_e32 v120, v120, v184                             // 00000000C8C8: 0AF17178
	v_mul_f32_e32 v121, v121, v185                             // 00000000C8CC: 0AF37379
	v_mul_f32_e32 v122, v122, v186                             // 00000000C8D0: 0AF5757A
	v_mul_f32_e32 v123, v123, v187                             // 00000000C8D4: 0AF7777B
	s_branch label_29BA                                        // 00000000C8D8: BF820200

000000000000c8dc <label_27BA>:
	v_mul_f32_e64 v4, -v60, s6                                 // 00000000C8DC: D1050004 20000D3C
	v_mul_f32_e64 v5, -v61, s6                                 // 00000000C8E4: D1050005 20000D3D
	v_mul_f32_e64 v6, -v62, s6                                 // 00000000C8EC: D1050006 20000D3E
	v_mul_f32_e64 v7, -v63, s6                                 // 00000000C8F4: D1050007 20000D3F
	v_exp_f32_e32 v4, v4                                       // 00000000C8FC: 7E084104
	v_exp_f32_e32 v5, v5                                       // 00000000C900: 7E0A4105
	v_exp_f32_e32 v6, v6                                       // 00000000C904: 7E0C4106
	v_exp_f32_e32 v7, v7                                       // 00000000C908: 7E0E4107
	v_add_f32_e64 v4, v4, 1.0                                  // 00000000C90C: D1010004 0001E504
	v_add_f32_e64 v5, v5, 1.0                                  // 00000000C914: D1010005 0001E505
	v_add_f32_e64 v6, v6, 1.0                                  // 00000000C91C: D1010006 0001E506
	v_add_f32_e64 v7, v7, 1.0                                  // 00000000C924: D1010007 0001E507
	v_rcp_f32_e32 v4, v4                                       // 00000000C92C: 7E084504
	v_rcp_f32_e32 v5, v5                                       // 00000000C930: 7E0A4505
	v_rcp_f32_e32 v6, v6                                       // 00000000C934: 7E0C4506
	v_rcp_f32_e32 v7, v7                                       // 00000000C938: 7E0E4507
	v_mul_f32_e32 v60, v60, v4                                 // 00000000C93C: 0A78093C
	v_mul_f32_e32 v61, v61, v5                                 // 00000000C940: 0A7A0B3D
	v_mul_f32_e32 v62, v62, v6                                 // 00000000C944: 0A7C0D3E
	v_mul_f32_e32 v63, v63, v7                                 // 00000000C948: 0A7E0F3F
	v_mul_f32_e32 v60, v60, v124                               // 00000000C94C: 0A78F93C
	v_mul_f32_e32 v61, v61, v125                               // 00000000C950: 0A7AFB3D
	v_mul_f32_e32 v62, v62, v126                               // 00000000C954: 0A7CFD3E
	v_mul_f32_e32 v63, v63, v127                               // 00000000C958: 0A7EFF3F
	v_mul_f32_e64 v4, -v64, s6                                 // 00000000C95C: D1050004 20000D40
	v_mul_f32_e64 v5, -v65, s6                                 // 00000000C964: D1050005 20000D41
	v_mul_f32_e64 v6, -v66, s6                                 // 00000000C96C: D1050006 20000D42
	v_mul_f32_e64 v7, -v67, s6                                 // 00000000C974: D1050007 20000D43
	v_exp_f32_e32 v4, v4                                       // 00000000C97C: 7E084104
	v_exp_f32_e32 v5, v5                                       // 00000000C980: 7E0A4105
	v_exp_f32_e32 v6, v6                                       // 00000000C984: 7E0C4106
	v_exp_f32_e32 v7, v7                                       // 00000000C988: 7E0E4107
	v_add_f32_e64 v4, v4, 1.0                                  // 00000000C98C: D1010004 0001E504
	v_add_f32_e64 v5, v5, 1.0                                  // 00000000C994: D1010005 0001E505
	v_add_f32_e64 v6, v6, 1.0                                  // 00000000C99C: D1010006 0001E506
	v_add_f32_e64 v7, v7, 1.0                                  // 00000000C9A4: D1010007 0001E507
	v_rcp_f32_e32 v4, v4                                       // 00000000C9AC: 7E084504
	v_rcp_f32_e32 v5, v5                                       // 00000000C9B0: 7E0A4505
	v_rcp_f32_e32 v6, v6                                       // 00000000C9B4: 7E0C4506
	v_rcp_f32_e32 v7, v7                                       // 00000000C9B8: 7E0E4507
	v_mul_f32_e32 v64, v64, v4                                 // 00000000C9BC: 0A800940
	v_mul_f32_e32 v65, v65, v5                                 // 00000000C9C0: 0A820B41
	v_mul_f32_e32 v66, v66, v6                                 // 00000000C9C4: 0A840D42
	v_mul_f32_e32 v67, v67, v7                                 // 00000000C9C8: 0A860F43
	v_mul_f32_e32 v64, v64, v128                               // 00000000C9CC: 0A810140
	v_mul_f32_e32 v65, v65, v129                               // 00000000C9D0: 0A830341
	v_mul_f32_e32 v66, v66, v130                               // 00000000C9D4: 0A850542
	v_mul_f32_e32 v67, v67, v131                               // 00000000C9D8: 0A870743
	v_mul_f32_e64 v4, -v68, s6                                 // 00000000C9DC: D1050004 20000D44
	v_mul_f32_e64 v5, -v69, s6                                 // 00000000C9E4: D1050005 20000D45
	v_mul_f32_e64 v6, -v70, s6                                 // 00000000C9EC: D1050006 20000D46
	v_mul_f32_e64 v7, -v71, s6                                 // 00000000C9F4: D1050007 20000D47
	v_exp_f32_e32 v4, v4                                       // 00000000C9FC: 7E084104
	v_exp_f32_e32 v5, v5                                       // 00000000CA00: 7E0A4105
	v_exp_f32_e32 v6, v6                                       // 00000000CA04: 7E0C4106
	v_exp_f32_e32 v7, v7                                       // 00000000CA08: 7E0E4107
	v_add_f32_e64 v4, v4, 1.0                                  // 00000000CA0C: D1010004 0001E504
	v_add_f32_e64 v5, v5, 1.0                                  // 00000000CA14: D1010005 0001E505
	v_add_f32_e64 v6, v6, 1.0                                  // 00000000CA1C: D1010006 0001E506
	v_add_f32_e64 v7, v7, 1.0                                  // 00000000CA24: D1010007 0001E507
	v_rcp_f32_e32 v4, v4                                       // 00000000CA2C: 7E084504
	v_rcp_f32_e32 v5, v5                                       // 00000000CA30: 7E0A4505
	v_rcp_f32_e32 v6, v6                                       // 00000000CA34: 7E0C4506
	v_rcp_f32_e32 v7, v7                                       // 00000000CA38: 7E0E4507
	v_mul_f32_e32 v68, v68, v4                                 // 00000000CA3C: 0A880944
	v_mul_f32_e32 v69, v69, v5                                 // 00000000CA40: 0A8A0B45
	v_mul_f32_e32 v70, v70, v6                                 // 00000000CA44: 0A8C0D46
	v_mul_f32_e32 v71, v71, v7                                 // 00000000CA48: 0A8E0F47
	v_mul_f32_e32 v68, v68, v132                               // 00000000CA4C: 0A890944
	v_mul_f32_e32 v69, v69, v133                               // 00000000CA50: 0A8B0B45
	v_mul_f32_e32 v70, v70, v134                               // 00000000CA54: 0A8D0D46
	v_mul_f32_e32 v71, v71, v135                               // 00000000CA58: 0A8F0F47
	v_mul_f32_e64 v4, -v72, s6                                 // 00000000CA5C: D1050004 20000D48
	v_mul_f32_e64 v5, -v73, s6                                 // 00000000CA64: D1050005 20000D49
	v_mul_f32_e64 v6, -v74, s6                                 // 00000000CA6C: D1050006 20000D4A
	v_mul_f32_e64 v7, -v75, s6                                 // 00000000CA74: D1050007 20000D4B
	v_exp_f32_e32 v4, v4                                       // 00000000CA7C: 7E084104
	v_exp_f32_e32 v5, v5                                       // 00000000CA80: 7E0A4105
	v_exp_f32_e32 v6, v6                                       // 00000000CA84: 7E0C4106
	v_exp_f32_e32 v7, v7                                       // 00000000CA88: 7E0E4107
	v_add_f32_e64 v4, v4, 1.0                                  // 00000000CA8C: D1010004 0001E504
	v_add_f32_e64 v5, v5, 1.0                                  // 00000000CA94: D1010005 0001E505
	v_add_f32_e64 v6, v6, 1.0                                  // 00000000CA9C: D1010006 0001E506
	v_add_f32_e64 v7, v7, 1.0                                  // 00000000CAA4: D1010007 0001E507
	v_rcp_f32_e32 v4, v4                                       // 00000000CAAC: 7E084504
	v_rcp_f32_e32 v5, v5                                       // 00000000CAB0: 7E0A4505
	v_rcp_f32_e32 v6, v6                                       // 00000000CAB4: 7E0C4506
	v_rcp_f32_e32 v7, v7                                       // 00000000CAB8: 7E0E4507
	v_mul_f32_e32 v72, v72, v4                                 // 00000000CABC: 0A900948
	v_mul_f32_e32 v73, v73, v5                                 // 00000000CAC0: 0A920B49
	v_mul_f32_e32 v74, v74, v6                                 // 00000000CAC4: 0A940D4A
	v_mul_f32_e32 v75, v75, v7                                 // 00000000CAC8: 0A960F4B
	v_mul_f32_e32 v72, v72, v136                               // 00000000CACC: 0A911148
	v_mul_f32_e32 v73, v73, v137                               // 00000000CAD0: 0A931349
	v_mul_f32_e32 v74, v74, v138                               // 00000000CAD4: 0A95154A
	v_mul_f32_e32 v75, v75, v139                               // 00000000CAD8: 0A97174B
	v_mul_f32_e64 v4, -v76, s6                                 // 00000000CADC: D1050004 20000D4C
	v_mul_f32_e64 v5, -v77, s6                                 // 00000000CAE4: D1050005 20000D4D
	v_mul_f32_e64 v6, -v78, s6                                 // 00000000CAEC: D1050006 20000D4E
	v_mul_f32_e64 v7, -v79, s6                                 // 00000000CAF4: D1050007 20000D4F
	v_exp_f32_e32 v4, v4                                       // 00000000CAFC: 7E084104
	v_exp_f32_e32 v5, v5                                       // 00000000CB00: 7E0A4105
	v_exp_f32_e32 v6, v6                                       // 00000000CB04: 7E0C4106
	v_exp_f32_e32 v7, v7                                       // 00000000CB08: 7E0E4107
	v_add_f32_e64 v4, v4, 1.0                                  // 00000000CB0C: D1010004 0001E504
	v_add_f32_e64 v5, v5, 1.0                                  // 00000000CB14: D1010005 0001E505
	v_add_f32_e64 v6, v6, 1.0                                  // 00000000CB1C: D1010006 0001E506
	v_add_f32_e64 v7, v7, 1.0                                  // 00000000CB24: D1010007 0001E507
	v_rcp_f32_e32 v4, v4                                       // 00000000CB2C: 7E084504
	v_rcp_f32_e32 v5, v5                                       // 00000000CB30: 7E0A4505
	v_rcp_f32_e32 v6, v6                                       // 00000000CB34: 7E0C4506
	v_rcp_f32_e32 v7, v7                                       // 00000000CB38: 7E0E4507
	v_mul_f32_e32 v76, v76, v4                                 // 00000000CB3C: 0A98094C
	v_mul_f32_e32 v77, v77, v5                                 // 00000000CB40: 0A9A0B4D
	v_mul_f32_e32 v78, v78, v6                                 // 00000000CB44: 0A9C0D4E
	v_mul_f32_e32 v79, v79, v7                                 // 00000000CB48: 0A9E0F4F
	v_mul_f32_e32 v76, v76, v140                               // 00000000CB4C: 0A99194C
	v_mul_f32_e32 v77, v77, v141                               // 00000000CB50: 0A9B1B4D
	v_mul_f32_e32 v78, v78, v142                               // 00000000CB54: 0A9D1D4E
	v_mul_f32_e32 v79, v79, v143                               // 00000000CB58: 0A9F1F4F
	v_mul_f32_e64 v4, -v80, s6                                 // 00000000CB5C: D1050004 20000D50
	v_mul_f32_e64 v5, -v81, s6                                 // 00000000CB64: D1050005 20000D51
	v_mul_f32_e64 v6, -v82, s6                                 // 00000000CB6C: D1050006 20000D52
	v_mul_f32_e64 v7, -v83, s6                                 // 00000000CB74: D1050007 20000D53
	v_exp_f32_e32 v4, v4                                       // 00000000CB7C: 7E084104
	v_exp_f32_e32 v5, v5                                       // 00000000CB80: 7E0A4105
	v_exp_f32_e32 v6, v6                                       // 00000000CB84: 7E0C4106
	v_exp_f32_e32 v7, v7                                       // 00000000CB88: 7E0E4107
	v_add_f32_e64 v4, v4, 1.0                                  // 00000000CB8C: D1010004 0001E504
	v_add_f32_e64 v5, v5, 1.0                                  // 00000000CB94: D1010005 0001E505
	v_add_f32_e64 v6, v6, 1.0                                  // 00000000CB9C: D1010006 0001E506
	v_add_f32_e64 v7, v7, 1.0                                  // 00000000CBA4: D1010007 0001E507
	v_rcp_f32_e32 v4, v4                                       // 00000000CBAC: 7E084504
	v_rcp_f32_e32 v5, v5                                       // 00000000CBB0: 7E0A4505
	v_rcp_f32_e32 v6, v6                                       // 00000000CBB4: 7E0C4506
	v_rcp_f32_e32 v7, v7                                       // 00000000CBB8: 7E0E4507
	v_mul_f32_e32 v80, v80, v4                                 // 00000000CBBC: 0AA00950
	v_mul_f32_e32 v81, v81, v5                                 // 00000000CBC0: 0AA20B51
	v_mul_f32_e32 v82, v82, v6                                 // 00000000CBC4: 0AA40D52
	v_mul_f32_e32 v83, v83, v7                                 // 00000000CBC8: 0AA60F53
	v_mul_f32_e32 v80, v80, v144                               // 00000000CBCC: 0AA12150
	v_mul_f32_e32 v81, v81, v145                               // 00000000CBD0: 0AA32351
	v_mul_f32_e32 v82, v82, v146                               // 00000000CBD4: 0AA52552
	v_mul_f32_e32 v83, v83, v147                               // 00000000CBD8: 0AA72753
	v_mul_f32_e64 v4, -v84, s6                                 // 00000000CBDC: D1050004 20000D54
	v_mul_f32_e64 v5, -v85, s6                                 // 00000000CBE4: D1050005 20000D55
	v_mul_f32_e64 v6, -v86, s6                                 // 00000000CBEC: D1050006 20000D56
	v_mul_f32_e64 v7, -v87, s6                                 // 00000000CBF4: D1050007 20000D57
	v_exp_f32_e32 v4, v4                                       // 00000000CBFC: 7E084104
	v_exp_f32_e32 v5, v5                                       // 00000000CC00: 7E0A4105
	v_exp_f32_e32 v6, v6                                       // 00000000CC04: 7E0C4106
	v_exp_f32_e32 v7, v7                                       // 00000000CC08: 7E0E4107
	v_add_f32_e64 v4, v4, 1.0                                  // 00000000CC0C: D1010004 0001E504
	v_add_f32_e64 v5, v5, 1.0                                  // 00000000CC14: D1010005 0001E505
	v_add_f32_e64 v6, v6, 1.0                                  // 00000000CC1C: D1010006 0001E506
	v_add_f32_e64 v7, v7, 1.0                                  // 00000000CC24: D1010007 0001E507
	v_rcp_f32_e32 v4, v4                                       // 00000000CC2C: 7E084504
	v_rcp_f32_e32 v5, v5                                       // 00000000CC30: 7E0A4505
	v_rcp_f32_e32 v6, v6                                       // 00000000CC34: 7E0C4506
	v_rcp_f32_e32 v7, v7                                       // 00000000CC38: 7E0E4507
	v_mul_f32_e32 v84, v84, v4                                 // 00000000CC3C: 0AA80954
	v_mul_f32_e32 v85, v85, v5                                 // 00000000CC40: 0AAA0B55
	v_mul_f32_e32 v86, v86, v6                                 // 00000000CC44: 0AAC0D56
	v_mul_f32_e32 v87, v87, v7                                 // 00000000CC48: 0AAE0F57
	v_mul_f32_e32 v84, v84, v148                               // 00000000CC4C: 0AA92954
	v_mul_f32_e32 v85, v85, v149                               // 00000000CC50: 0AAB2B55
	v_mul_f32_e32 v86, v86, v150                               // 00000000CC54: 0AAD2D56
	v_mul_f32_e32 v87, v87, v151                               // 00000000CC58: 0AAF2F57
	v_mul_f32_e64 v4, -v88, s6                                 // 00000000CC5C: D1050004 20000D58
	v_mul_f32_e64 v5, -v89, s6                                 // 00000000CC64: D1050005 20000D59
	v_mul_f32_e64 v6, -v90, s6                                 // 00000000CC6C: D1050006 20000D5A
	v_mul_f32_e64 v7, -v91, s6                                 // 00000000CC74: D1050007 20000D5B
	v_exp_f32_e32 v4, v4                                       // 00000000CC7C: 7E084104
	v_exp_f32_e32 v5, v5                                       // 00000000CC80: 7E0A4105
	v_exp_f32_e32 v6, v6                                       // 00000000CC84: 7E0C4106
	v_exp_f32_e32 v7, v7                                       // 00000000CC88: 7E0E4107
	v_add_f32_e64 v4, v4, 1.0                                  // 00000000CC8C: D1010004 0001E504
	v_add_f32_e64 v5, v5, 1.0                                  // 00000000CC94: D1010005 0001E505
	v_add_f32_e64 v6, v6, 1.0                                  // 00000000CC9C: D1010006 0001E506
	v_add_f32_e64 v7, v7, 1.0                                  // 00000000CCA4: D1010007 0001E507
	v_rcp_f32_e32 v4, v4                                       // 00000000CCAC: 7E084504
	v_rcp_f32_e32 v5, v5                                       // 00000000CCB0: 7E0A4505
	v_rcp_f32_e32 v6, v6                                       // 00000000CCB4: 7E0C4506
	v_rcp_f32_e32 v7, v7                                       // 00000000CCB8: 7E0E4507
	v_mul_f32_e32 v88, v88, v4                                 // 00000000CCBC: 0AB00958
	v_mul_f32_e32 v89, v89, v5                                 // 00000000CCC0: 0AB20B59
	v_mul_f32_e32 v90, v90, v6                                 // 00000000CCC4: 0AB40D5A
	v_mul_f32_e32 v91, v91, v7                                 // 00000000CCC8: 0AB60F5B
	v_mul_f32_e32 v88, v88, v152                               // 00000000CCCC: 0AB13158
	v_mul_f32_e32 v89, v89, v153                               // 00000000CCD0: 0AB33359
	v_mul_f32_e32 v90, v90, v154                               // 00000000CCD4: 0AB5355A
	v_mul_f32_e32 v91, v91, v155                               // 00000000CCD8: 0AB7375B
	v_mul_f32_e64 v4, -v92, s6                                 // 00000000CCDC: D1050004 20000D5C
	v_mul_f32_e64 v5, -v93, s6                                 // 00000000CCE4: D1050005 20000D5D
	v_mul_f32_e64 v6, -v94, s6                                 // 00000000CCEC: D1050006 20000D5E
	v_mul_f32_e64 v7, -v95, s6                                 // 00000000CCF4: D1050007 20000D5F
	v_exp_f32_e32 v4, v4                                       // 00000000CCFC: 7E084104
	v_exp_f32_e32 v5, v5                                       // 00000000CD00: 7E0A4105
	v_exp_f32_e32 v6, v6                                       // 00000000CD04: 7E0C4106
	v_exp_f32_e32 v7, v7                                       // 00000000CD08: 7E0E4107
	v_add_f32_e64 v4, v4, 1.0                                  // 00000000CD0C: D1010004 0001E504
	v_add_f32_e64 v5, v5, 1.0                                  // 00000000CD14: D1010005 0001E505
	v_add_f32_e64 v6, v6, 1.0                                  // 00000000CD1C: D1010006 0001E506
	v_add_f32_e64 v7, v7, 1.0                                  // 00000000CD24: D1010007 0001E507
	v_rcp_f32_e32 v4, v4                                       // 00000000CD2C: 7E084504
	v_rcp_f32_e32 v5, v5                                       // 00000000CD30: 7E0A4505
	v_rcp_f32_e32 v6, v6                                       // 00000000CD34: 7E0C4506
	v_rcp_f32_e32 v7, v7                                       // 00000000CD38: 7E0E4507
	v_mul_f32_e32 v92, v92, v4                                 // 00000000CD3C: 0AB8095C
	v_mul_f32_e32 v93, v93, v5                                 // 00000000CD40: 0ABA0B5D
	v_mul_f32_e32 v94, v94, v6                                 // 00000000CD44: 0ABC0D5E
	v_mul_f32_e32 v95, v95, v7                                 // 00000000CD48: 0ABE0F5F
	v_mul_f32_e32 v92, v92, v156                               // 00000000CD4C: 0AB9395C
	v_mul_f32_e32 v93, v93, v157                               // 00000000CD50: 0ABB3B5D
	v_mul_f32_e32 v94, v94, v158                               // 00000000CD54: 0ABD3D5E
	v_mul_f32_e32 v95, v95, v159                               // 00000000CD58: 0ABF3F5F
	v_mul_f32_e64 v4, -v96, s6                                 // 00000000CD5C: D1050004 20000D60
	v_mul_f32_e64 v5, -v97, s6                                 // 00000000CD64: D1050005 20000D61
	v_mul_f32_e64 v6, -v98, s6                                 // 00000000CD6C: D1050006 20000D62
	v_mul_f32_e64 v7, -v99, s6                                 // 00000000CD74: D1050007 20000D63
	v_exp_f32_e32 v4, v4                                       // 00000000CD7C: 7E084104
	v_exp_f32_e32 v5, v5                                       // 00000000CD80: 7E0A4105
	v_exp_f32_e32 v6, v6                                       // 00000000CD84: 7E0C4106
	v_exp_f32_e32 v7, v7                                       // 00000000CD88: 7E0E4107
	v_add_f32_e64 v4, v4, 1.0                                  // 00000000CD8C: D1010004 0001E504
	v_add_f32_e64 v5, v5, 1.0                                  // 00000000CD94: D1010005 0001E505
	v_add_f32_e64 v6, v6, 1.0                                  // 00000000CD9C: D1010006 0001E506
	v_add_f32_e64 v7, v7, 1.0                                  // 00000000CDA4: D1010007 0001E507
	v_rcp_f32_e32 v4, v4                                       // 00000000CDAC: 7E084504
	v_rcp_f32_e32 v5, v5                                       // 00000000CDB0: 7E0A4505
	v_rcp_f32_e32 v6, v6                                       // 00000000CDB4: 7E0C4506
	v_rcp_f32_e32 v7, v7                                       // 00000000CDB8: 7E0E4507
	v_mul_f32_e32 v96, v96, v4                                 // 00000000CDBC: 0AC00960
	v_mul_f32_e32 v97, v97, v5                                 // 00000000CDC0: 0AC20B61
	v_mul_f32_e32 v98, v98, v6                                 // 00000000CDC4: 0AC40D62
	v_mul_f32_e32 v99, v99, v7                                 // 00000000CDC8: 0AC60F63
	v_mul_f32_e32 v96, v96, v160                               // 00000000CDCC: 0AC14160
	v_mul_f32_e32 v97, v97, v161                               // 00000000CDD0: 0AC34361
	v_mul_f32_e32 v98, v98, v162                               // 00000000CDD4: 0AC54562
	v_mul_f32_e32 v99, v99, v163                               // 00000000CDD8: 0AC74763
	v_mul_f32_e64 v4, -v100, s6                                // 00000000CDDC: D1050004 20000D64
	v_mul_f32_e64 v5, -v101, s6                                // 00000000CDE4: D1050005 20000D65
	v_mul_f32_e64 v6, -v102, s6                                // 00000000CDEC: D1050006 20000D66
	v_mul_f32_e64 v7, -v103, s6                                // 00000000CDF4: D1050007 20000D67
	v_exp_f32_e32 v4, v4                                       // 00000000CDFC: 7E084104
	v_exp_f32_e32 v5, v5                                       // 00000000CE00: 7E0A4105
	v_exp_f32_e32 v6, v6                                       // 00000000CE04: 7E0C4106
	v_exp_f32_e32 v7, v7                                       // 00000000CE08: 7E0E4107
	v_add_f32_e64 v4, v4, 1.0                                  // 00000000CE0C: D1010004 0001E504
	v_add_f32_e64 v5, v5, 1.0                                  // 00000000CE14: D1010005 0001E505
	v_add_f32_e64 v6, v6, 1.0                                  // 00000000CE1C: D1010006 0001E506
	v_add_f32_e64 v7, v7, 1.0                                  // 00000000CE24: D1010007 0001E507
	v_rcp_f32_e32 v4, v4                                       // 00000000CE2C: 7E084504
	v_rcp_f32_e32 v5, v5                                       // 00000000CE30: 7E0A4505
	v_rcp_f32_e32 v6, v6                                       // 00000000CE34: 7E0C4506
	v_rcp_f32_e32 v7, v7                                       // 00000000CE38: 7E0E4507
	v_mul_f32_e32 v100, v100, v4                               // 00000000CE3C: 0AC80964
	v_mul_f32_e32 v101, v101, v5                               // 00000000CE40: 0ACA0B65
	v_mul_f32_e32 v102, v102, v6                               // 00000000CE44: 0ACC0D66
	v_mul_f32_e32 v103, v103, v7                               // 00000000CE48: 0ACE0F67
	v_mul_f32_e32 v100, v100, v164                             // 00000000CE4C: 0AC94964
	v_mul_f32_e32 v101, v101, v165                             // 00000000CE50: 0ACB4B65
	v_mul_f32_e32 v102, v102, v166                             // 00000000CE54: 0ACD4D66
	v_mul_f32_e32 v103, v103, v167                             // 00000000CE58: 0ACF4F67
	v_mul_f32_e64 v4, -v104, s6                                // 00000000CE5C: D1050004 20000D68
	v_mul_f32_e64 v5, -v105, s6                                // 00000000CE64: D1050005 20000D69
	v_mul_f32_e64 v6, -v106, s6                                // 00000000CE6C: D1050006 20000D6A
	v_mul_f32_e64 v7, -v107, s6                                // 00000000CE74: D1050007 20000D6B
	v_exp_f32_e32 v4, v4                                       // 00000000CE7C: 7E084104
	v_exp_f32_e32 v5, v5                                       // 00000000CE80: 7E0A4105
	v_exp_f32_e32 v6, v6                                       // 00000000CE84: 7E0C4106
	v_exp_f32_e32 v7, v7                                       // 00000000CE88: 7E0E4107
	v_add_f32_e64 v4, v4, 1.0                                  // 00000000CE8C: D1010004 0001E504
	v_add_f32_e64 v5, v5, 1.0                                  // 00000000CE94: D1010005 0001E505
	v_add_f32_e64 v6, v6, 1.0                                  // 00000000CE9C: D1010006 0001E506
	v_add_f32_e64 v7, v7, 1.0                                  // 00000000CEA4: D1010007 0001E507
	v_rcp_f32_e32 v4, v4                                       // 00000000CEAC: 7E084504
	v_rcp_f32_e32 v5, v5                                       // 00000000CEB0: 7E0A4505
	v_rcp_f32_e32 v6, v6                                       // 00000000CEB4: 7E0C4506
	v_rcp_f32_e32 v7, v7                                       // 00000000CEB8: 7E0E4507
	v_mul_f32_e32 v104, v104, v4                               // 00000000CEBC: 0AD00968
	v_mul_f32_e32 v105, v105, v5                               // 00000000CEC0: 0AD20B69
	v_mul_f32_e32 v106, v106, v6                               // 00000000CEC4: 0AD40D6A
	v_mul_f32_e32 v107, v107, v7                               // 00000000CEC8: 0AD60F6B
	v_mul_f32_e32 v104, v104, v168                             // 00000000CECC: 0AD15168
	v_mul_f32_e32 v105, v105, v169                             // 00000000CED0: 0AD35369
	v_mul_f32_e32 v106, v106, v170                             // 00000000CED4: 0AD5556A
	v_mul_f32_e32 v107, v107, v171                             // 00000000CED8: 0AD7576B
	v_mul_f32_e64 v4, -v108, s6                                // 00000000CEDC: D1050004 20000D6C
	v_mul_f32_e64 v5, -v109, s6                                // 00000000CEE4: D1050005 20000D6D
	v_mul_f32_e64 v6, -v110, s6                                // 00000000CEEC: D1050006 20000D6E
	v_mul_f32_e64 v7, -v111, s6                                // 00000000CEF4: D1050007 20000D6F
	v_exp_f32_e32 v4, v4                                       // 00000000CEFC: 7E084104
	v_exp_f32_e32 v5, v5                                       // 00000000CF00: 7E0A4105
	v_exp_f32_e32 v6, v6                                       // 00000000CF04: 7E0C4106
	v_exp_f32_e32 v7, v7                                       // 00000000CF08: 7E0E4107
	v_add_f32_e64 v4, v4, 1.0                                  // 00000000CF0C: D1010004 0001E504
	v_add_f32_e64 v5, v5, 1.0                                  // 00000000CF14: D1010005 0001E505
	v_add_f32_e64 v6, v6, 1.0                                  // 00000000CF1C: D1010006 0001E506
	v_add_f32_e64 v7, v7, 1.0                                  // 00000000CF24: D1010007 0001E507
	v_rcp_f32_e32 v4, v4                                       // 00000000CF2C: 7E084504
	v_rcp_f32_e32 v5, v5                                       // 00000000CF30: 7E0A4505
	v_rcp_f32_e32 v6, v6                                       // 00000000CF34: 7E0C4506
	v_rcp_f32_e32 v7, v7                                       // 00000000CF38: 7E0E4507
	v_mul_f32_e32 v108, v108, v4                               // 00000000CF3C: 0AD8096C
	v_mul_f32_e32 v109, v109, v5                               // 00000000CF40: 0ADA0B6D
	v_mul_f32_e32 v110, v110, v6                               // 00000000CF44: 0ADC0D6E
	v_mul_f32_e32 v111, v111, v7                               // 00000000CF48: 0ADE0F6F
	v_mul_f32_e32 v108, v108, v172                             // 00000000CF4C: 0AD9596C
	v_mul_f32_e32 v109, v109, v173                             // 00000000CF50: 0ADB5B6D
	v_mul_f32_e32 v110, v110, v174                             // 00000000CF54: 0ADD5D6E
	v_mul_f32_e32 v111, v111, v175                             // 00000000CF58: 0ADF5F6F
	v_mul_f32_e64 v4, -v112, s6                                // 00000000CF5C: D1050004 20000D70
	v_mul_f32_e64 v5, -v113, s6                                // 00000000CF64: D1050005 20000D71
	v_mul_f32_e64 v6, -v114, s6                                // 00000000CF6C: D1050006 20000D72
	v_mul_f32_e64 v7, -v115, s6                                // 00000000CF74: D1050007 20000D73
	v_exp_f32_e32 v4, v4                                       // 00000000CF7C: 7E084104
	v_exp_f32_e32 v5, v5                                       // 00000000CF80: 7E0A4105
	v_exp_f32_e32 v6, v6                                       // 00000000CF84: 7E0C4106
	v_exp_f32_e32 v7, v7                                       // 00000000CF88: 7E0E4107
	v_add_f32_e64 v4, v4, 1.0                                  // 00000000CF8C: D1010004 0001E504
	v_add_f32_e64 v5, v5, 1.0                                  // 00000000CF94: D1010005 0001E505
	v_add_f32_e64 v6, v6, 1.0                                  // 00000000CF9C: D1010006 0001E506
	v_add_f32_e64 v7, v7, 1.0                                  // 00000000CFA4: D1010007 0001E507
	v_rcp_f32_e32 v4, v4                                       // 00000000CFAC: 7E084504
	v_rcp_f32_e32 v5, v5                                       // 00000000CFB0: 7E0A4505
	v_rcp_f32_e32 v6, v6                                       // 00000000CFB4: 7E0C4506
	v_rcp_f32_e32 v7, v7                                       // 00000000CFB8: 7E0E4507
	v_mul_f32_e32 v112, v112, v4                               // 00000000CFBC: 0AE00970
	v_mul_f32_e32 v113, v113, v5                               // 00000000CFC0: 0AE20B71
	v_mul_f32_e32 v114, v114, v6                               // 00000000CFC4: 0AE40D72
	v_mul_f32_e32 v115, v115, v7                               // 00000000CFC8: 0AE60F73
	v_mul_f32_e32 v112, v112, v176                             // 00000000CFCC: 0AE16170
	v_mul_f32_e32 v113, v113, v177                             // 00000000CFD0: 0AE36371
	v_mul_f32_e32 v114, v114, v178                             // 00000000CFD4: 0AE56572
	v_mul_f32_e32 v115, v115, v179                             // 00000000CFD8: 0AE76773
	v_mul_f32_e64 v4, -v116, s6                                // 00000000CFDC: D1050004 20000D74
	v_mul_f32_e64 v5, -v117, s6                                // 00000000CFE4: D1050005 20000D75
	v_mul_f32_e64 v6, -v118, s6                                // 00000000CFEC: D1050006 20000D76
	v_mul_f32_e64 v7, -v119, s6                                // 00000000CFF4: D1050007 20000D77
	v_exp_f32_e32 v4, v4                                       // 00000000CFFC: 7E084104
	v_exp_f32_e32 v5, v5                                       // 00000000D000: 7E0A4105
	v_exp_f32_e32 v6, v6                                       // 00000000D004: 7E0C4106
	v_exp_f32_e32 v7, v7                                       // 00000000D008: 7E0E4107
	v_add_f32_e64 v4, v4, 1.0                                  // 00000000D00C: D1010004 0001E504
	v_add_f32_e64 v5, v5, 1.0                                  // 00000000D014: D1010005 0001E505
	v_add_f32_e64 v6, v6, 1.0                                  // 00000000D01C: D1010006 0001E506
	v_add_f32_e64 v7, v7, 1.0                                  // 00000000D024: D1010007 0001E507
	v_rcp_f32_e32 v4, v4                                       // 00000000D02C: 7E084504
	v_rcp_f32_e32 v5, v5                                       // 00000000D030: 7E0A4505
	v_rcp_f32_e32 v6, v6                                       // 00000000D034: 7E0C4506
	v_rcp_f32_e32 v7, v7                                       // 00000000D038: 7E0E4507
	v_mul_f32_e32 v116, v116, v4                               // 00000000D03C: 0AE80974
	v_mul_f32_e32 v117, v117, v5                               // 00000000D040: 0AEA0B75
	v_mul_f32_e32 v118, v118, v6                               // 00000000D044: 0AEC0D76
	v_mul_f32_e32 v119, v119, v7                               // 00000000D048: 0AEE0F77
	v_mul_f32_e32 v116, v116, v180                             // 00000000D04C: 0AE96974
	v_mul_f32_e32 v117, v117, v181                             // 00000000D050: 0AEB6B75
	v_mul_f32_e32 v118, v118, v182                             // 00000000D054: 0AED6D76
	v_mul_f32_e32 v119, v119, v183                             // 00000000D058: 0AEF6F77
	v_mul_f32_e64 v4, -v120, s6                                // 00000000D05C: D1050004 20000D78
	v_mul_f32_e64 v5, -v121, s6                                // 00000000D064: D1050005 20000D79
	v_mul_f32_e64 v6, -v122, s6                                // 00000000D06C: D1050006 20000D7A
	v_mul_f32_e64 v7, -v123, s6                                // 00000000D074: D1050007 20000D7B
	v_exp_f32_e32 v4, v4                                       // 00000000D07C: 7E084104
	v_exp_f32_e32 v5, v5                                       // 00000000D080: 7E0A4105
	v_exp_f32_e32 v6, v6                                       // 00000000D084: 7E0C4106
	v_exp_f32_e32 v7, v7                                       // 00000000D088: 7E0E4107
	v_add_f32_e64 v4, v4, 1.0                                  // 00000000D08C: D1010004 0001E504
	v_add_f32_e64 v5, v5, 1.0                                  // 00000000D094: D1010005 0001E505
	v_add_f32_e64 v6, v6, 1.0                                  // 00000000D09C: D1010006 0001E506
	v_add_f32_e64 v7, v7, 1.0                                  // 00000000D0A4: D1010007 0001E507
	v_rcp_f32_e32 v4, v4                                       // 00000000D0AC: 7E084504
	v_rcp_f32_e32 v5, v5                                       // 00000000D0B0: 7E0A4505
	v_rcp_f32_e32 v6, v6                                       // 00000000D0B4: 7E0C4506
	v_rcp_f32_e32 v7, v7                                       // 00000000D0B8: 7E0E4507
	v_mul_f32_e32 v120, v120, v4                               // 00000000D0BC: 0AF00978
	v_mul_f32_e32 v121, v121, v5                               // 00000000D0C0: 0AF20B79
	v_mul_f32_e32 v122, v122, v6                               // 00000000D0C4: 0AF40D7A
	v_mul_f32_e32 v123, v123, v7                               // 00000000D0C8: 0AF60F7B
	v_mul_f32_e32 v120, v120, v184                             // 00000000D0CC: 0AF17178
	v_mul_f32_e32 v121, v121, v185                             // 00000000D0D0: 0AF37379
	v_mul_f32_e32 v122, v122, v186                             // 00000000D0D4: 0AF5757A
	v_mul_f32_e32 v123, v123, v187                             // 00000000D0D8: 0AF7777B

000000000000d0dc <label_29BA>:
	v_cmp_u_f32_e64 s[46:47], v60, v60                         // 00000000D0DC: D048002E 0002793C
	v_add3_u32 v16, v60, v19, 1                                // 00000000D0E4: D1FF0010 0206273C
	v_cndmask_b32_e64 v4, v16, v18, s[46:47]                   // 00000000D0EC: D1000004 00BA2510
	v_cmp_u_f32_e64 s[46:47], v61, v61                         // 00000000D0F4: D048002E 00027B3D
	v_add3_u32 v16, v61, v19, 1                                // 00000000D0FC: D1FF0010 0206273D
	v_cndmask_b32_e64 v5, v16, v18, s[46:47]                   // 00000000D104: D1000005 00BA2510
	v_perm_b32 v60, v5, v4, s52                                // 00000000D10C: D1ED003C 00D20905
	v_cmp_u_f32_e64 s[46:47], v62, v62                         // 00000000D114: D048002E 00027D3E
	v_add3_u32 v16, v62, v19, 1                                // 00000000D11C: D1FF0010 0206273E
	v_cndmask_b32_e64 v4, v16, v18, s[46:47]                   // 00000000D124: D1000004 00BA2510
	v_cmp_u_f32_e64 s[46:47], v63, v63                         // 00000000D12C: D048002E 00027F3F
	v_add3_u32 v16, v63, v19, 1                                // 00000000D134: D1FF0010 0206273F
	v_cndmask_b32_e64 v5, v16, v18, s[46:47]                   // 00000000D13C: D1000005 00BA2510
	v_perm_b32 v61, v5, v4, s52                                // 00000000D144: D1ED003D 00D20905
	v_cmp_u_f32_e64 s[46:47], v64, v64                         // 00000000D14C: D048002E 00028140
	v_add3_u32 v16, v64, v19, 1                                // 00000000D154: D1FF0010 02062740
	v_cndmask_b32_e64 v4, v16, v18, s[46:47]                   // 00000000D15C: D1000004 00BA2510
	v_cmp_u_f32_e64 s[46:47], v65, v65                         // 00000000D164: D048002E 00028341
	v_add3_u32 v16, v65, v19, 1                                // 00000000D16C: D1FF0010 02062741
	v_cndmask_b32_e64 v5, v16, v18, s[46:47]                   // 00000000D174: D1000005 00BA2510
	v_perm_b32 v62, v5, v4, s52                                // 00000000D17C: D1ED003E 00D20905
	v_cmp_u_f32_e64 s[46:47], v66, v66                         // 00000000D184: D048002E 00028542
	v_add3_u32 v16, v66, v19, 1                                // 00000000D18C: D1FF0010 02062742
	v_cndmask_b32_e64 v4, v16, v18, s[46:47]                   // 00000000D194: D1000004 00BA2510
	v_cmp_u_f32_e64 s[46:47], v67, v67                         // 00000000D19C: D048002E 00028743
	v_add3_u32 v16, v67, v19, 1                                // 00000000D1A4: D1FF0010 02062743
	v_cndmask_b32_e64 v5, v16, v18, s[46:47]                   // 00000000D1AC: D1000005 00BA2510
	v_perm_b32 v63, v5, v4, s52                                // 00000000D1B4: D1ED003F 00D20905
	v_cmp_u_f32_e64 s[46:47], v68, v68                         // 00000000D1BC: D048002E 00028944
	v_add3_u32 v16, v68, v19, 1                                // 00000000D1C4: D1FF0010 02062744
	v_cndmask_b32_e64 v4, v16, v18, s[46:47]                   // 00000000D1CC: D1000004 00BA2510
	v_cmp_u_f32_e64 s[46:47], v69, v69                         // 00000000D1D4: D048002E 00028B45
	v_add3_u32 v16, v69, v19, 1                                // 00000000D1DC: D1FF0010 02062745
	v_cndmask_b32_e64 v5, v16, v18, s[46:47]                   // 00000000D1E4: D1000005 00BA2510
	v_perm_b32 v64, v5, v4, s52                                // 00000000D1EC: D1ED0040 00D20905
	v_cmp_u_f32_e64 s[46:47], v70, v70                         // 00000000D1F4: D048002E 00028D46
	v_add3_u32 v16, v70, v19, 1                                // 00000000D1FC: D1FF0010 02062746
	v_cndmask_b32_e64 v4, v16, v18, s[46:47]                   // 00000000D204: D1000004 00BA2510
	v_cmp_u_f32_e64 s[46:47], v71, v71                         // 00000000D20C: D048002E 00028F47
	v_add3_u32 v16, v71, v19, 1                                // 00000000D214: D1FF0010 02062747
	v_cndmask_b32_e64 v5, v16, v18, s[46:47]                   // 00000000D21C: D1000005 00BA2510
	v_perm_b32 v65, v5, v4, s52                                // 00000000D224: D1ED0041 00D20905
	v_cmp_u_f32_e64 s[46:47], v72, v72                         // 00000000D22C: D048002E 00029148
	v_add3_u32 v16, v72, v19, 1                                // 00000000D234: D1FF0010 02062748
	v_cndmask_b32_e64 v4, v16, v18, s[46:47]                   // 00000000D23C: D1000004 00BA2510
	v_cmp_u_f32_e64 s[46:47], v73, v73                         // 00000000D244: D048002E 00029349
	v_add3_u32 v16, v73, v19, 1                                // 00000000D24C: D1FF0010 02062749
	v_cndmask_b32_e64 v5, v16, v18, s[46:47]                   // 00000000D254: D1000005 00BA2510
	v_perm_b32 v66, v5, v4, s52                                // 00000000D25C: D1ED0042 00D20905
	v_cmp_u_f32_e64 s[46:47], v74, v74                         // 00000000D264: D048002E 0002954A
	v_add3_u32 v16, v74, v19, 1                                // 00000000D26C: D1FF0010 0206274A
	v_cndmask_b32_e64 v4, v16, v18, s[46:47]                   // 00000000D274: D1000004 00BA2510
	v_cmp_u_f32_e64 s[46:47], v75, v75                         // 00000000D27C: D048002E 0002974B
	v_add3_u32 v16, v75, v19, 1                                // 00000000D284: D1FF0010 0206274B
	v_cndmask_b32_e64 v5, v16, v18, s[46:47]                   // 00000000D28C: D1000005 00BA2510
	v_perm_b32 v67, v5, v4, s52                                // 00000000D294: D1ED0043 00D20905
	v_cmp_u_f32_e64 s[46:47], v76, v76                         // 00000000D29C: D048002E 0002994C
	v_add3_u32 v16, v76, v19, 1                                // 00000000D2A4: D1FF0010 0206274C
	v_cndmask_b32_e64 v4, v16, v18, s[46:47]                   // 00000000D2AC: D1000004 00BA2510
	v_cmp_u_f32_e64 s[46:47], v77, v77                         // 00000000D2B4: D048002E 00029B4D
	v_add3_u32 v16, v77, v19, 1                                // 00000000D2BC: D1FF0010 0206274D
	v_cndmask_b32_e64 v5, v16, v18, s[46:47]                   // 00000000D2C4: D1000005 00BA2510
	v_perm_b32 v68, v5, v4, s52                                // 00000000D2CC: D1ED0044 00D20905
	v_cmp_u_f32_e64 s[46:47], v78, v78                         // 00000000D2D4: D048002E 00029D4E
	v_add3_u32 v16, v78, v19, 1                                // 00000000D2DC: D1FF0010 0206274E
	v_cndmask_b32_e64 v4, v16, v18, s[46:47]                   // 00000000D2E4: D1000004 00BA2510
	v_cmp_u_f32_e64 s[46:47], v79, v79                         // 00000000D2EC: D048002E 00029F4F
	v_add3_u32 v16, v79, v19, 1                                // 00000000D2F4: D1FF0010 0206274F
	v_cndmask_b32_e64 v5, v16, v18, s[46:47]                   // 00000000D2FC: D1000005 00BA2510
	v_perm_b32 v69, v5, v4, s52                                // 00000000D304: D1ED0045 00D20905
	v_cmp_u_f32_e64 s[46:47], v80, v80                         // 00000000D30C: D048002E 0002A150
	v_add3_u32 v16, v80, v19, 1                                // 00000000D314: D1FF0010 02062750
	v_cndmask_b32_e64 v4, v16, v18, s[46:47]                   // 00000000D31C: D1000004 00BA2510
	v_cmp_u_f32_e64 s[46:47], v81, v81                         // 00000000D324: D048002E 0002A351
	v_add3_u32 v16, v81, v19, 1                                // 00000000D32C: D1FF0010 02062751
	v_cndmask_b32_e64 v5, v16, v18, s[46:47]                   // 00000000D334: D1000005 00BA2510
	v_perm_b32 v70, v5, v4, s52                                // 00000000D33C: D1ED0046 00D20905
	v_cmp_u_f32_e64 s[46:47], v82, v82                         // 00000000D344: D048002E 0002A552
	v_add3_u32 v16, v82, v19, 1                                // 00000000D34C: D1FF0010 02062752
	v_cndmask_b32_e64 v4, v16, v18, s[46:47]                   // 00000000D354: D1000004 00BA2510
	v_cmp_u_f32_e64 s[46:47], v83, v83                         // 00000000D35C: D048002E 0002A753
	v_add3_u32 v16, v83, v19, 1                                // 00000000D364: D1FF0010 02062753
	v_cndmask_b32_e64 v5, v16, v18, s[46:47]                   // 00000000D36C: D1000005 00BA2510
	v_perm_b32 v71, v5, v4, s52                                // 00000000D374: D1ED0047 00D20905
	v_cmp_u_f32_e64 s[46:47], v84, v84                         // 00000000D37C: D048002E 0002A954
	v_add3_u32 v16, v84, v19, 1                                // 00000000D384: D1FF0010 02062754
	v_cndmask_b32_e64 v4, v16, v18, s[46:47]                   // 00000000D38C: D1000004 00BA2510
	v_cmp_u_f32_e64 s[46:47], v85, v85                         // 00000000D394: D048002E 0002AB55
	v_add3_u32 v16, v85, v19, 1                                // 00000000D39C: D1FF0010 02062755
	v_cndmask_b32_e64 v5, v16, v18, s[46:47]                   // 00000000D3A4: D1000005 00BA2510
	v_perm_b32 v72, v5, v4, s52                                // 00000000D3AC: D1ED0048 00D20905
	v_cmp_u_f32_e64 s[46:47], v86, v86                         // 00000000D3B4: D048002E 0002AD56
	v_add3_u32 v16, v86, v19, 1                                // 00000000D3BC: D1FF0010 02062756
	v_cndmask_b32_e64 v4, v16, v18, s[46:47]                   // 00000000D3C4: D1000004 00BA2510
	v_cmp_u_f32_e64 s[46:47], v87, v87                         // 00000000D3CC: D048002E 0002AF57
	v_add3_u32 v16, v87, v19, 1                                // 00000000D3D4: D1FF0010 02062757
	v_cndmask_b32_e64 v5, v16, v18, s[46:47]                   // 00000000D3DC: D1000005 00BA2510
	v_perm_b32 v73, v5, v4, s52                                // 00000000D3E4: D1ED0049 00D20905
	v_cmp_u_f32_e64 s[46:47], v88, v88                         // 00000000D3EC: D048002E 0002B158
	v_add3_u32 v16, v88, v19, 1                                // 00000000D3F4: D1FF0010 02062758
	v_cndmask_b32_e64 v4, v16, v18, s[46:47]                   // 00000000D3FC: D1000004 00BA2510
	v_cmp_u_f32_e64 s[46:47], v89, v89                         // 00000000D404: D048002E 0002B359
	v_add3_u32 v16, v89, v19, 1                                // 00000000D40C: D1FF0010 02062759
	v_cndmask_b32_e64 v5, v16, v18, s[46:47]                   // 00000000D414: D1000005 00BA2510
	v_perm_b32 v74, v5, v4, s52                                // 00000000D41C: D1ED004A 00D20905
	v_cmp_u_f32_e64 s[46:47], v90, v90                         // 00000000D424: D048002E 0002B55A
	v_add3_u32 v16, v90, v19, 1                                // 00000000D42C: D1FF0010 0206275A
	v_cndmask_b32_e64 v4, v16, v18, s[46:47]                   // 00000000D434: D1000004 00BA2510
	v_cmp_u_f32_e64 s[46:47], v91, v91                         // 00000000D43C: D048002E 0002B75B
	v_add3_u32 v16, v91, v19, 1                                // 00000000D444: D1FF0010 0206275B
	v_cndmask_b32_e64 v5, v16, v18, s[46:47]                   // 00000000D44C: D1000005 00BA2510
	v_perm_b32 v75, v5, v4, s52                                // 00000000D454: D1ED004B 00D20905
	v_cmp_u_f32_e64 s[46:47], v92, v92                         // 00000000D45C: D048002E 0002B95C
	v_add3_u32 v16, v92, v19, 1                                // 00000000D464: D1FF0010 0206275C
	v_cndmask_b32_e64 v4, v16, v18, s[46:47]                   // 00000000D46C: D1000004 00BA2510
	v_cmp_u_f32_e64 s[46:47], v93, v93                         // 00000000D474: D048002E 0002BB5D
	v_add3_u32 v16, v93, v19, 1                                // 00000000D47C: D1FF0010 0206275D
	v_cndmask_b32_e64 v5, v16, v18, s[46:47]                   // 00000000D484: D1000005 00BA2510
	v_perm_b32 v76, v5, v4, s52                                // 00000000D48C: D1ED004C 00D20905
	v_cmp_u_f32_e64 s[46:47], v94, v94                         // 00000000D494: D048002E 0002BD5E
	v_add3_u32 v16, v94, v19, 1                                // 00000000D49C: D1FF0010 0206275E
	v_cndmask_b32_e64 v4, v16, v18, s[46:47]                   // 00000000D4A4: D1000004 00BA2510
	v_cmp_u_f32_e64 s[46:47], v95, v95                         // 00000000D4AC: D048002E 0002BF5F
	v_add3_u32 v16, v95, v19, 1                                // 00000000D4B4: D1FF0010 0206275F
	v_cndmask_b32_e64 v5, v16, v18, s[46:47]                   // 00000000D4BC: D1000005 00BA2510
	v_perm_b32 v77, v5, v4, s52                                // 00000000D4C4: D1ED004D 00D20905
	v_cmp_u_f32_e64 s[46:47], v96, v96                         // 00000000D4CC: D048002E 0002C160
	v_add3_u32 v16, v96, v19, 1                                // 00000000D4D4: D1FF0010 02062760
	v_cndmask_b32_e64 v4, v16, v18, s[46:47]                   // 00000000D4DC: D1000004 00BA2510
	v_cmp_u_f32_e64 s[46:47], v97, v97                         // 00000000D4E4: D048002E 0002C361
	v_add3_u32 v16, v97, v19, 1                                // 00000000D4EC: D1FF0010 02062761
	v_cndmask_b32_e64 v5, v16, v18, s[46:47]                   // 00000000D4F4: D1000005 00BA2510
	v_perm_b32 v78, v5, v4, s52                                // 00000000D4FC: D1ED004E 00D20905
	v_cmp_u_f32_e64 s[46:47], v98, v98                         // 00000000D504: D048002E 0002C562
	v_add3_u32 v16, v98, v19, 1                                // 00000000D50C: D1FF0010 02062762
	v_cndmask_b32_e64 v4, v16, v18, s[46:47]                   // 00000000D514: D1000004 00BA2510
	v_cmp_u_f32_e64 s[46:47], v99, v99                         // 00000000D51C: D048002E 0002C763
	v_add3_u32 v16, v99, v19, 1                                // 00000000D524: D1FF0010 02062763
	v_cndmask_b32_e64 v5, v16, v18, s[46:47]                   // 00000000D52C: D1000005 00BA2510
	v_perm_b32 v79, v5, v4, s52                                // 00000000D534: D1ED004F 00D20905
	v_cmp_u_f32_e64 s[46:47], v100, v100                       // 00000000D53C: D048002E 0002C964
	v_add3_u32 v16, v100, v19, 1                               // 00000000D544: D1FF0010 02062764
	v_cndmask_b32_e64 v4, v16, v18, s[46:47]                   // 00000000D54C: D1000004 00BA2510
	v_cmp_u_f32_e64 s[46:47], v101, v101                       // 00000000D554: D048002E 0002CB65
	v_add3_u32 v16, v101, v19, 1                               // 00000000D55C: D1FF0010 02062765
	v_cndmask_b32_e64 v5, v16, v18, s[46:47]                   // 00000000D564: D1000005 00BA2510
	v_perm_b32 v80, v5, v4, s52                                // 00000000D56C: D1ED0050 00D20905
	v_cmp_u_f32_e64 s[46:47], v102, v102                       // 00000000D574: D048002E 0002CD66
	v_add3_u32 v16, v102, v19, 1                               // 00000000D57C: D1FF0010 02062766
	v_cndmask_b32_e64 v4, v16, v18, s[46:47]                   // 00000000D584: D1000004 00BA2510
	v_cmp_u_f32_e64 s[46:47], v103, v103                       // 00000000D58C: D048002E 0002CF67
	v_add3_u32 v16, v103, v19, 1                               // 00000000D594: D1FF0010 02062767
	v_cndmask_b32_e64 v5, v16, v18, s[46:47]                   // 00000000D59C: D1000005 00BA2510
	v_perm_b32 v81, v5, v4, s52                                // 00000000D5A4: D1ED0051 00D20905
	v_cmp_u_f32_e64 s[46:47], v104, v104                       // 00000000D5AC: D048002E 0002D168
	v_add3_u32 v16, v104, v19, 1                               // 00000000D5B4: D1FF0010 02062768
	v_cndmask_b32_e64 v4, v16, v18, s[46:47]                   // 00000000D5BC: D1000004 00BA2510
	v_cmp_u_f32_e64 s[46:47], v105, v105                       // 00000000D5C4: D048002E 0002D369
	v_add3_u32 v16, v105, v19, 1                               // 00000000D5CC: D1FF0010 02062769
	v_cndmask_b32_e64 v5, v16, v18, s[46:47]                   // 00000000D5D4: D1000005 00BA2510
	v_perm_b32 v82, v5, v4, s52                                // 00000000D5DC: D1ED0052 00D20905
	v_cmp_u_f32_e64 s[46:47], v106, v106                       // 00000000D5E4: D048002E 0002D56A
	v_add3_u32 v16, v106, v19, 1                               // 00000000D5EC: D1FF0010 0206276A
	v_cndmask_b32_e64 v4, v16, v18, s[46:47]                   // 00000000D5F4: D1000004 00BA2510
	v_cmp_u_f32_e64 s[46:47], v107, v107                       // 00000000D5FC: D048002E 0002D76B
	v_add3_u32 v16, v107, v19, 1                               // 00000000D604: D1FF0010 0206276B
	v_cndmask_b32_e64 v5, v16, v18, s[46:47]                   // 00000000D60C: D1000005 00BA2510
	v_perm_b32 v83, v5, v4, s52                                // 00000000D614: D1ED0053 00D20905
	v_cmp_u_f32_e64 s[46:47], v108, v108                       // 00000000D61C: D048002E 0002D96C
	v_add3_u32 v16, v108, v19, 1                               // 00000000D624: D1FF0010 0206276C
	v_cndmask_b32_e64 v4, v16, v18, s[46:47]                   // 00000000D62C: D1000004 00BA2510
	v_cmp_u_f32_e64 s[46:47], v109, v109                       // 00000000D634: D048002E 0002DB6D
	v_add3_u32 v16, v109, v19, 1                               // 00000000D63C: D1FF0010 0206276D
	v_cndmask_b32_e64 v5, v16, v18, s[46:47]                   // 00000000D644: D1000005 00BA2510
	v_perm_b32 v84, v5, v4, s52                                // 00000000D64C: D1ED0054 00D20905
	v_cmp_u_f32_e64 s[46:47], v110, v110                       // 00000000D654: D048002E 0002DD6E
	v_add3_u32 v16, v110, v19, 1                               // 00000000D65C: D1FF0010 0206276E
	v_cndmask_b32_e64 v4, v16, v18, s[46:47]                   // 00000000D664: D1000004 00BA2510
	v_cmp_u_f32_e64 s[46:47], v111, v111                       // 00000000D66C: D048002E 0002DF6F
	v_add3_u32 v16, v111, v19, 1                               // 00000000D674: D1FF0010 0206276F
	v_cndmask_b32_e64 v5, v16, v18, s[46:47]                   // 00000000D67C: D1000005 00BA2510
	v_perm_b32 v85, v5, v4, s52                                // 00000000D684: D1ED0055 00D20905
	v_cmp_u_f32_e64 s[46:47], v112, v112                       // 00000000D68C: D048002E 0002E170
	v_add3_u32 v16, v112, v19, 1                               // 00000000D694: D1FF0010 02062770
	v_cndmask_b32_e64 v4, v16, v18, s[46:47]                   // 00000000D69C: D1000004 00BA2510
	v_cmp_u_f32_e64 s[46:47], v113, v113                       // 00000000D6A4: D048002E 0002E371
	v_add3_u32 v16, v113, v19, 1                               // 00000000D6AC: D1FF0010 02062771
	v_cndmask_b32_e64 v5, v16, v18, s[46:47]                   // 00000000D6B4: D1000005 00BA2510
	v_perm_b32 v86, v5, v4, s52                                // 00000000D6BC: D1ED0056 00D20905
	v_cmp_u_f32_e64 s[46:47], v114, v114                       // 00000000D6C4: D048002E 0002E572
	v_add3_u32 v16, v114, v19, 1                               // 00000000D6CC: D1FF0010 02062772
	v_cndmask_b32_e64 v4, v16, v18, s[46:47]                   // 00000000D6D4: D1000004 00BA2510
	v_cmp_u_f32_e64 s[46:47], v115, v115                       // 00000000D6DC: D048002E 0002E773
	v_add3_u32 v16, v115, v19, 1                               // 00000000D6E4: D1FF0010 02062773
	v_cndmask_b32_e64 v5, v16, v18, s[46:47]                   // 00000000D6EC: D1000005 00BA2510
	v_perm_b32 v87, v5, v4, s52                                // 00000000D6F4: D1ED0057 00D20905
	v_cmp_u_f32_e64 s[46:47], v116, v116                       // 00000000D6FC: D048002E 0002E974
	v_add3_u32 v16, v116, v19, 1                               // 00000000D704: D1FF0010 02062774
	v_cndmask_b32_e64 v4, v16, v18, s[46:47]                   // 00000000D70C: D1000004 00BA2510
	v_cmp_u_f32_e64 s[46:47], v117, v117                       // 00000000D714: D048002E 0002EB75
	v_add3_u32 v16, v117, v19, 1                               // 00000000D71C: D1FF0010 02062775
	v_cndmask_b32_e64 v5, v16, v18, s[46:47]                   // 00000000D724: D1000005 00BA2510
	v_perm_b32 v88, v5, v4, s52                                // 00000000D72C: D1ED0058 00D20905
	v_cmp_u_f32_e64 s[46:47], v118, v118                       // 00000000D734: D048002E 0002ED76
	v_add3_u32 v16, v118, v19, 1                               // 00000000D73C: D1FF0010 02062776
	v_cndmask_b32_e64 v4, v16, v18, s[46:47]                   // 00000000D744: D1000004 00BA2510
	v_cmp_u_f32_e64 s[46:47], v119, v119                       // 00000000D74C: D048002E 0002EF77
	v_add3_u32 v16, v119, v19, 1                               // 00000000D754: D1FF0010 02062777
	v_cndmask_b32_e64 v5, v16, v18, s[46:47]                   // 00000000D75C: D1000005 00BA2510
	v_perm_b32 v89, v5, v4, s52                                // 00000000D764: D1ED0059 00D20905
	v_cmp_u_f32_e64 s[46:47], v120, v120                       // 00000000D76C: D048002E 0002F178
	v_add3_u32 v16, v120, v19, 1                               // 00000000D774: D1FF0010 02062778
	v_cndmask_b32_e64 v4, v16, v18, s[46:47]                   // 00000000D77C: D1000004 00BA2510
	v_cmp_u_f32_e64 s[46:47], v121, v121                       // 00000000D784: D048002E 0002F379
	v_add3_u32 v16, v121, v19, 1                               // 00000000D78C: D1FF0010 02062779
	v_cndmask_b32_e64 v5, v16, v18, s[46:47]                   // 00000000D794: D1000005 00BA2510
	v_perm_b32 v90, v5, v4, s52                                // 00000000D79C: D1ED005A 00D20905
	v_cmp_u_f32_e64 s[46:47], v122, v122                       // 00000000D7A4: D048002E 0002F57A
	v_add3_u32 v16, v122, v19, 1                               // 00000000D7AC: D1FF0010 0206277A
	v_cndmask_b32_e64 v4, v16, v18, s[46:47]                   // 00000000D7B4: D1000004 00BA2510
	v_cmp_u_f32_e64 s[46:47], v123, v123                       // 00000000D7BC: D048002E 0002F77B
	v_add3_u32 v16, v123, v19, 1                               // 00000000D7C4: D1FF0010 0206277B
	v_cndmask_b32_e64 v5, v16, v18, s[46:47]                   // 00000000D7CC: D1000005 00BA2510
	v_perm_b32 v91, v5, v4, s52                                // 00000000D7D4: D1ED005B 00D20905
	ds_write_b64 v20, v[60:61]                                 // 00000000D7DC: D89A0000 00003C14
	ds_write_b64 v20, v[62:63] offset:8704                     // 00000000D7E4: D89A2200 00003E14
	ds_write_b64 v20, v[64:65] offset:17408                    // 00000000D7EC: D89A4400 00004014
	ds_write_b64 v20, v[66:67] offset:26112                    // 00000000D7F4: D89A6600 00004214
	ds_write_b64 v20, v[68:69] offset:2176                     // 00000000D7FC: D89A0880 00004414
	ds_write_b64 v20, v[70:71] offset:10880                    // 00000000D804: D89A2A80 00004614
	ds_write_b64 v20, v[72:73] offset:19584                    // 00000000D80C: D89A4C80 00004814
	ds_write_b64 v20, v[74:75] offset:28288                    // 00000000D814: D89A6E80 00004A14
	ds_write_b64 v20, v[76:77] offset:4352                     // 00000000D81C: D89A1100 00004C14
	ds_write_b64 v20, v[78:79] offset:13056                    // 00000000D824: D89A3300 00004E14
	ds_write_b64 v20, v[80:81] offset:21760                    // 00000000D82C: D89A5500 00005014
	ds_write_b64 v20, v[82:83] offset:30464                    // 00000000D834: D89A7700 00005214
	ds_write_b64 v20, v[84:85] offset:6528                     // 00000000D83C: D89A1980 00005414
	ds_write_b64 v20, v[86:87] offset:15232                    // 00000000D844: D89A3B80 00005614
	ds_write_b64 v20, v[88:89] offset:23936                    // 00000000D84C: D89A5D80 00005814
	ds_write_b64 v20, v[90:91] offset:32640                    // 00000000D854: D89A7F80 00005A14
	v_lshrrev_b32_e32 v4, 5, v0                                // 00000000D85C: 20080085
	v_xor_b32_e32 v5, 1, v4                                    // 00000000D860: 2A0A0881
	s_mul_i32 s60, s65, 2                                      // 00000000D864: 923C8241
	s_cmp_eq_u32 s88, 0                                        // 00000000D868: BF068058
	s_cselect_b32 s61, 1, 4                                    // 00000000D86C: 853D8481
	s_mul_i32 s60, s61, s60                                    // 00000000D870: 923C3C3D
	v_readlane_b32 s82, v3, 0                                  // 00000000D874: D2890052 00010103
	s_lshr_b32 s61, s82, 24                                    // 00000000D87C: 8F3D9852
	s_and_b32 s82, s82, 0xffffff                               // 00000000D880: 8652FF52 00FFFFFF
	s_mul_i32 s82, s82, s71                                    // 00000000D888: 92524752
	s_mul_i32 s61, s60, s61                                    // 00000000D88C: 923D3D3C
	s_add_u32 s82, s82, s61                                    // 00000000D890: 80523D52
	v_mul_lo_u32 v6, v5, s82                                   // 00000000D894: D2850006 0000A505
	v_readlane_b32 s82, v3, 1                                  // 00000000D89C: D2890052 00010303
	s_lshr_b32 s61, s82, 24                                    // 00000000D8A4: 8F3D9852
	s_and_b32 s82, s82, 0xffffff                               // 00000000D8A8: 8652FF52 00FFFFFF
	s_mul_i32 s82, s82, s71                                    // 00000000D8B0: 92524752
	s_mul_i32 s61, s60, s61                                    // 00000000D8B4: 923D3D3C
	s_add_u32 s82, s82, s61                                    // 00000000D8B8: 80523D52
	v_mul_lo_u32 v7, v4, s82                                   // 00000000D8BC: D2850007 0000A504
	v_add_u32_e32 v46, v6, v7                                  // 00000000D8C4: 685C0F06
	v_readlane_b32 s82, v3, 2                                  // 00000000D8C8: D2890052 00010503
	s_lshr_b32 s61, s82, 24                                    // 00000000D8D0: 8F3D9852
	s_and_b32 s82, s82, 0xffffff                               // 00000000D8D4: 8652FF52 00FFFFFF
	s_mul_i32 s82, s82, s71                                    // 00000000D8DC: 92524752
	s_mul_i32 s61, s60, s61                                    // 00000000D8E0: 923D3D3C
	s_add_u32 s82, s82, s61                                    // 00000000D8E4: 80523D52
	v_mul_lo_u32 v6, v5, s82                                   // 00000000D8E8: D2850006 0000A505
	v_readlane_b32 s82, v3, 3                                  // 00000000D8F0: D2890052 00010703
	s_lshr_b32 s61, s82, 24                                    // 00000000D8F8: 8F3D9852
	s_and_b32 s82, s82, 0xffffff                               // 00000000D8FC: 8652FF52 00FFFFFF
	s_mul_i32 s82, s82, s71                                    // 00000000D904: 92524752
	s_mul_i32 s61, s60, s61                                    // 00000000D908: 923D3D3C
	s_add_u32 s82, s82, s61                                    // 00000000D90C: 80523D52
	v_mul_lo_u32 v7, v4, s82                                   // 00000000D910: D2850007 0000A504
	v_add_u32_e32 v47, v6, v7                                  // 00000000D918: 685E0F06
	v_readlane_b32 s82, v3, 4                                  // 00000000D91C: D2890052 00010903
	s_lshr_b32 s61, s82, 24                                    // 00000000D924: 8F3D9852
	s_and_b32 s82, s82, 0xffffff                               // 00000000D928: 8652FF52 00FFFFFF
	s_mul_i32 s82, s82, s71                                    // 00000000D930: 92524752
	s_mul_i32 s61, s60, s61                                    // 00000000D934: 923D3D3C
	s_add_u32 s82, s82, s61                                    // 00000000D938: 80523D52
	v_mul_lo_u32 v6, v5, s82                                   // 00000000D93C: D2850006 0000A505
	v_readlane_b32 s82, v3, 5                                  // 00000000D944: D2890052 00010B03
	s_lshr_b32 s61, s82, 24                                    // 00000000D94C: 8F3D9852
	s_and_b32 s82, s82, 0xffffff                               // 00000000D950: 8652FF52 00FFFFFF
	s_mul_i32 s82, s82, s71                                    // 00000000D958: 92524752
	s_mul_i32 s61, s60, s61                                    // 00000000D95C: 923D3D3C
	s_add_u32 s82, s82, s61                                    // 00000000D960: 80523D52
	v_mul_lo_u32 v7, v4, s82                                   // 00000000D964: D2850007 0000A504
	v_add_u32_e32 v48, v6, v7                                  // 00000000D96C: 68600F06
	v_readlane_b32 s82, v3, 6                                  // 00000000D970: D2890052 00010D03
	s_lshr_b32 s61, s82, 24                                    // 00000000D978: 8F3D9852
	s_and_b32 s82, s82, 0xffffff                               // 00000000D97C: 8652FF52 00FFFFFF
	s_mul_i32 s82, s82, s71                                    // 00000000D984: 92524752
	s_mul_i32 s61, s60, s61                                    // 00000000D988: 923D3D3C
	s_add_u32 s82, s82, s61                                    // 00000000D98C: 80523D52
	v_mul_lo_u32 v6, v5, s82                                   // 00000000D990: D2850006 0000A505
	v_readlane_b32 s82, v3, 7                                  // 00000000D998: D2890052 00010F03
	s_lshr_b32 s61, s82, 24                                    // 00000000D9A0: 8F3D9852
	s_and_b32 s82, s82, 0xffffff                               // 00000000D9A4: 8652FF52 00FFFFFF
	s_mul_i32 s82, s82, s71                                    // 00000000D9AC: 92524752
	s_mul_i32 s61, s60, s61                                    // 00000000D9B0: 923D3D3C
	s_add_u32 s82, s82, s61                                    // 00000000D9B4: 80523D52
	v_mul_lo_u32 v7, v4, s82                                   // 00000000D9B8: D2850007 0000A504
	v_add_u32_e32 v49, v6, v7                                  // 00000000D9C0: 68620F06
	v_readlane_b32 s82, v3, 8                                  // 00000000D9C4: D2890052 00011103
	s_lshr_b32 s61, s82, 24                                    // 00000000D9CC: 8F3D9852
	s_and_b32 s82, s82, 0xffffff                               // 00000000D9D0: 8652FF52 00FFFFFF
	s_mul_i32 s82, s82, s71                                    // 00000000D9D8: 92524752
	s_mul_i32 s61, s60, s61                                    // 00000000D9DC: 923D3D3C
	s_add_u32 s82, s82, s61                                    // 00000000D9E0: 80523D52
	v_mul_lo_u32 v6, v5, s82                                   // 00000000D9E4: D2850006 0000A505
	v_readlane_b32 s82, v3, 9                                  // 00000000D9EC: D2890052 00011303
	s_lshr_b32 s61, s82, 24                                    // 00000000D9F4: 8F3D9852
	s_and_b32 s82, s82, 0xffffff                               // 00000000D9F8: 8652FF52 00FFFFFF
	s_mul_i32 s82, s82, s71                                    // 00000000DA00: 92524752
	s_mul_i32 s61, s60, s61                                    // 00000000DA04: 923D3D3C
	s_add_u32 s82, s82, s61                                    // 00000000DA08: 80523D52
	v_mul_lo_u32 v7, v4, s82                                   // 00000000DA0C: D2850007 0000A504
	v_add_u32_e32 v50, v6, v7                                  // 00000000DA14: 68640F06
	v_readlane_b32 s82, v3, 10                                 // 00000000DA18: D2890052 00011503
	s_lshr_b32 s61, s82, 24                                    // 00000000DA20: 8F3D9852
	s_and_b32 s82, s82, 0xffffff                               // 00000000DA24: 8652FF52 00FFFFFF
	s_mul_i32 s82, s82, s71                                    // 00000000DA2C: 92524752
	s_mul_i32 s61, s60, s61                                    // 00000000DA30: 923D3D3C
	s_add_u32 s82, s82, s61                                    // 00000000DA34: 80523D52
	v_mul_lo_u32 v6, v5, s82                                   // 00000000DA38: D2850006 0000A505
	v_readlane_b32 s82, v3, 11                                 // 00000000DA40: D2890052 00011703
	s_lshr_b32 s61, s82, 24                                    // 00000000DA48: 8F3D9852
	s_and_b32 s82, s82, 0xffffff                               // 00000000DA4C: 8652FF52 00FFFFFF
	s_mul_i32 s82, s82, s71                                    // 00000000DA54: 92524752
	s_mul_i32 s61, s60, s61                                    // 00000000DA58: 923D3D3C
	s_add_u32 s82, s82, s61                                    // 00000000DA5C: 80523D52
	v_mul_lo_u32 v7, v4, s82                                   // 00000000DA60: D2850007 0000A504
	v_add_u32_e32 v51, v6, v7                                  // 00000000DA68: 68660F06
	v_readlane_b32 s82, v3, 12                                 // 00000000DA6C: D2890052 00011903
	s_lshr_b32 s61, s82, 24                                    // 00000000DA74: 8F3D9852
	s_and_b32 s82, s82, 0xffffff                               // 00000000DA78: 8652FF52 00FFFFFF
	s_mul_i32 s82, s82, s71                                    // 00000000DA80: 92524752
	s_mul_i32 s61, s60, s61                                    // 00000000DA84: 923D3D3C
	s_add_u32 s82, s82, s61                                    // 00000000DA88: 80523D52
	v_mul_lo_u32 v6, v5, s82                                   // 00000000DA8C: D2850006 0000A505
	v_readlane_b32 s82, v3, 13                                 // 00000000DA94: D2890052 00011B03
	s_lshr_b32 s61, s82, 24                                    // 00000000DA9C: 8F3D9852
	s_and_b32 s82, s82, 0xffffff                               // 00000000DAA0: 8652FF52 00FFFFFF
	s_mul_i32 s82, s82, s71                                    // 00000000DAA8: 92524752
	s_mul_i32 s61, s60, s61                                    // 00000000DAAC: 923D3D3C
	s_add_u32 s82, s82, s61                                    // 00000000DAB0: 80523D52
	v_mul_lo_u32 v7, v4, s82                                   // 00000000DAB4: D2850007 0000A504
	v_add_u32_e32 v52, v6, v7                                  // 00000000DABC: 68680F06
	v_readlane_b32 s82, v3, 14                                 // 00000000DAC0: D2890052 00011D03
	s_lshr_b32 s61, s82, 24                                    // 00000000DAC8: 8F3D9852
	s_and_b32 s82, s82, 0xffffff                               // 00000000DACC: 8652FF52 00FFFFFF
	s_mul_i32 s82, s82, s71                                    // 00000000DAD4: 92524752
	s_mul_i32 s61, s60, s61                                    // 00000000DAD8: 923D3D3C
	s_add_u32 s82, s82, s61                                    // 00000000DADC: 80523D52
	v_mul_lo_u32 v6, v5, s82                                   // 00000000DAE0: D2850006 0000A505
	v_readlane_b32 s82, v3, 15                                 // 00000000DAE8: D2890052 00011F03
	s_lshr_b32 s61, s82, 24                                    // 00000000DAF0: 8F3D9852
	s_and_b32 s82, s82, 0xffffff                               // 00000000DAF4: 8652FF52 00FFFFFF
	s_mul_i32 s82, s82, s71                                    // 00000000DAFC: 92524752
	s_mul_i32 s61, s60, s61                                    // 00000000DB00: 923D3D3C
	s_add_u32 s82, s82, s61                                    // 00000000DB04: 80523D52
	v_mul_lo_u32 v7, v4, s82                                   // 00000000DB08: D2850007 0000A504
	v_add_u32_e32 v53, v6, v7                                  // 00000000DB10: 686A0F06
	v_and_b32_e32 v4, 31, v0                                   // 00000000DB14: 2608009F
	v_lshrrev_b32_e32 v4, 1, v4                                // 00000000DB18: 20080881
	s_cmp_eq_u32 s88, 0                                        // 00000000DB1C: BF068058
	s_cselect_b32 s61, 2, 4                                    // 00000000DB20: 853D8482
	v_mul_lo_u32 v4, v4, s61                                   // 00000000DB24: D2850004 00007B04
	v_and_b32_e64 v5, v0, 1                                    // 00000000DB2C: D1130005 00010300
	v_add_u32_e32 v4, v4, v5                                   // 00000000DB34: 68080B04
	v_lshlrev_b32_e32 v4, 2, v4                                // 00000000DB38: 24080882
	v_add_u32_e32 v46, v46, v4                                 // 00000000DB3C: 685C092E
	v_add_u32_e32 v47, v47, v4                                 // 00000000DB40: 685E092F
	v_add_u32_e32 v48, v48, v4                                 // 00000000DB44: 68600930
	v_add_u32_e32 v49, v49, v4                                 // 00000000DB48: 68620931
	v_add_u32_e32 v50, v50, v4                                 // 00000000DB4C: 68640932
	v_add_u32_e32 v51, v51, v4                                 // 00000000DB50: 68660933
	v_add_u32_e32 v52, v52, v4                                 // 00000000DB54: 68680934
	v_add_u32_e32 v53, v53, v4                                 // 00000000DB58: 686A0935
	s_waitcnt lgkmcnt(0)                                       // 00000000DB5C: BF8CC07F
	s_barrier                                                  // 00000000DB60: BF8A0000
	ds_read_b32 v60, v21                                       // 00000000DB64: D86C0000 3C000015
	ds_read_b32 v61, v21 offset:64                             // 00000000DB6C: D86C0040 3D000015
	ds_read_b32 v62, v21 offset:2176                           // 00000000DB74: D86C0880 3E000015
	ds_read_b32 v63, v21 offset:2240                           // 00000000DB7C: D86C08C0 3F000015
	ds_read_b32 v64, v21 offset:4352                           // 00000000DB84: D86C1100 40000015
	ds_read_b32 v65, v21 offset:4416                           // 00000000DB8C: D86C1140 41000015
	ds_read_b32 v66, v21 offset:6528                           // 00000000DB94: D86C1980 42000015
	ds_read_b32 v67, v21 offset:6592                           // 00000000DB9C: D86C19C0 43000015
	ds_read_b32 v68, v21 offset:8704                           // 00000000DBA4: D86C2200 44000015
	ds_read_b32 v69, v21 offset:8768                           // 00000000DBAC: D86C2240 45000015
	ds_read_b32 v70, v21 offset:10880                          // 00000000DBB4: D86C2A80 46000015
	ds_read_b32 v71, v21 offset:10944                          // 00000000DBBC: D86C2AC0 47000015
	ds_read_b32 v72, v21 offset:13056                          // 00000000DBC4: D86C3300 48000015
	ds_read_b32 v73, v21 offset:13120                          // 00000000DBCC: D86C3340 49000015
	ds_read_b32 v74, v21 offset:15232                          // 00000000DBD4: D86C3B80 4A000015
	ds_read_b32 v75, v21 offset:15296                          // 00000000DBDC: D86C3BC0 4B000015
	ds_read_b32 v76, v21 offset:17408                          // 00000000DBE4: D86C4400 4C000015
	ds_read_b32 v77, v21 offset:17472                          // 00000000DBEC: D86C4440 4D000015
	ds_read_b32 v78, v21 offset:19584                          // 00000000DBF4: D86C4C80 4E000015
	ds_read_b32 v79, v21 offset:19648                          // 00000000DBFC: D86C4CC0 4F000015
	ds_read_b32 v80, v21 offset:21760                          // 00000000DC04: D86C5500 50000015
	ds_read_b32 v81, v21 offset:21824                          // 00000000DC0C: D86C5540 51000015
	ds_read_b32 v82, v21 offset:23936                          // 00000000DC14: D86C5D80 52000015
	ds_read_b32 v83, v21 offset:24000                          // 00000000DC1C: D86C5DC0 53000015
	ds_read_b32 v84, v21 offset:26112                          // 00000000DC24: D86C6600 54000015
	ds_read_b32 v85, v21 offset:26176                          // 00000000DC2C: D86C6640 55000015
	ds_read_b32 v86, v21 offset:28288                          // 00000000DC34: D86C6E80 56000015
	ds_read_b32 v87, v21 offset:28352                          // 00000000DC3C: D86C6EC0 57000015
	ds_read_b32 v88, v21 offset:30464                          // 00000000DC44: D86C7700 58000015
	ds_read_b32 v89, v21 offset:30528                          // 00000000DC4C: D86C7740 59000015
	ds_read_b32 v90, v21 offset:32640                          // 00000000DC54: D86C7F80 5A000015
	ds_read_b32 v91, v21 offset:32704                          // 00000000DC5C: D86C7FC0 5B000015
	s_waitcnt lgkmcnt(0)                                       // 00000000DC64: BF8CC07F
	s_mov_b32 s36, -1                                          // 00000000DC68: BEA400C1
	s_mov_b32 s37, -1                                          // 00000000DC6C: BEA500C1
	v_mov_b32_e32 v7, 0                                        // 00000000DC70: 7E0E0280
	s_or_b32 s9, s9, 0x40000                                   // 00000000DC74: 8709FF09 00040000
	s_mov_b64 exec, s[36:37]                                   // 00000000DC7C: BEFE0124
	v_mov_b32_e32 v6, v46                                      // 00000000DC80: 7E0C032E
	s_mov_b64 s[60:61], 0                                      // 00000000DC84: BEBC0180
	v_readlane_b32 s82, v3, 0                                  // 00000000DC88: D2890052 00010103
	s_and_b32 s82, s82, 0xffffff                               // 00000000DC90: 8652FF52 00FFFFFF
	s_cmp_lt_u32 s82, s66                                      // 00000000DC98: BF0A4252
	s_cselect_b32 s20, s36, s60                                // 00000000DC9C: 85143C24
	v_readlane_b32 s82, v3, 1                                  // 00000000DCA0: D2890052 00010303
	s_and_b32 s82, s82, 0xffffff                               // 00000000DCA8: 8652FF52 00FFFFFF
	s_cmp_lt_u32 s82, s66                                      // 00000000DCB0: BF0A4252
	s_cselect_b32 s21, s36, s60                                // 00000000DCB4: 85153C24
	s_mov_b64 exec, s[20:21]                                   // 00000000DCB8: BEFE0114
	buffer_store_dword v60, v6, s[8:11], 0 offen               // 00000000DCBC: E0701000 80023C06
	buffer_store_dword v62, v6, s[8:11], 0 offen offset:128    // 00000000DCC4: E0701080 80023E06
	buffer_store_dword v64, v6, s[8:11], 0 offen offset:256    // 00000000DCCC: E0701100 80024006
	buffer_store_dword v66, v6, s[8:11], 0 offen offset:384    // 00000000DCD4: E0701180 80024206
	s_mov_b64 exec, s[36:37]                                   // 00000000DCDC: BEFE0124
	v_mov_b32_e32 v6, v47                                      // 00000000DCE0: 7E0C032F
	s_mov_b64 s[60:61], 0                                      // 00000000DCE4: BEBC0180
	v_readlane_b32 s82, v3, 2                                  // 00000000DCE8: D2890052 00010503
	s_and_b32 s82, s82, 0xffffff                               // 00000000DCF0: 8652FF52 00FFFFFF
	s_cmp_lt_u32 s82, s66                                      // 00000000DCF8: BF0A4252
	s_cselect_b32 s20, s36, s60                                // 00000000DCFC: 85143C24
	v_readlane_b32 s82, v3, 3                                  // 00000000DD00: D2890052 00010703
	s_and_b32 s82, s82, 0xffffff                               // 00000000DD08: 8652FF52 00FFFFFF
	s_cmp_lt_u32 s82, s66                                      // 00000000DD10: BF0A4252
	s_cselect_b32 s21, s36, s60                                // 00000000DD14: 85153C24
	s_mov_b64 exec, s[20:21]                                   // 00000000DD18: BEFE0114
	buffer_store_dword v61, v6, s[8:11], 0 offen               // 00000000DD1C: E0701000 80023D06
	buffer_store_dword v63, v6, s[8:11], 0 offen offset:128    // 00000000DD24: E0701080 80023F06
	buffer_store_dword v65, v6, s[8:11], 0 offen offset:256    // 00000000DD2C: E0701100 80024106
	buffer_store_dword v67, v6, s[8:11], 0 offen offset:384    // 00000000DD34: E0701180 80024306
	s_mov_b64 exec, s[36:37]                                   // 00000000DD3C: BEFE0124
	v_mov_b32_e32 v6, v48                                      // 00000000DD40: 7E0C0330
	s_mov_b64 s[60:61], 0                                      // 00000000DD44: BEBC0180
	v_readlane_b32 s82, v3, 4                                  // 00000000DD48: D2890052 00010903
	s_and_b32 s82, s82, 0xffffff                               // 00000000DD50: 8652FF52 00FFFFFF
	s_cmp_lt_u32 s82, s66                                      // 00000000DD58: BF0A4252
	s_cselect_b32 s20, s36, s60                                // 00000000DD5C: 85143C24
	v_readlane_b32 s82, v3, 5                                  // 00000000DD60: D2890052 00010B03
	s_and_b32 s82, s82, 0xffffff                               // 00000000DD68: 8652FF52 00FFFFFF
	s_cmp_lt_u32 s82, s66                                      // 00000000DD70: BF0A4252
	s_cselect_b32 s21, s36, s60                                // 00000000DD74: 85153C24
	s_mov_b64 exec, s[20:21]                                   // 00000000DD78: BEFE0114
	buffer_store_dword v68, v6, s[8:11], 0 offen               // 00000000DD7C: E0701000 80024406
	buffer_store_dword v70, v6, s[8:11], 0 offen offset:128    // 00000000DD84: E0701080 80024606
	buffer_store_dword v72, v6, s[8:11], 0 offen offset:256    // 00000000DD8C: E0701100 80024806
	buffer_store_dword v74, v6, s[8:11], 0 offen offset:384    // 00000000DD94: E0701180 80024A06
	s_mov_b64 exec, s[36:37]                                   // 00000000DD9C: BEFE0124
	v_mov_b32_e32 v6, v49                                      // 00000000DDA0: 7E0C0331
	s_mov_b64 s[60:61], 0                                      // 00000000DDA4: BEBC0180
	v_readlane_b32 s82, v3, 6                                  // 00000000DDA8: D2890052 00010D03
	s_and_b32 s82, s82, 0xffffff                               // 00000000DDB0: 8652FF52 00FFFFFF
	s_cmp_lt_u32 s82, s66                                      // 00000000DDB8: BF0A4252
	s_cselect_b32 s20, s36, s60                                // 00000000DDBC: 85143C24
	v_readlane_b32 s82, v3, 7                                  // 00000000DDC0: D2890052 00010F03
	s_and_b32 s82, s82, 0xffffff                               // 00000000DDC8: 8652FF52 00FFFFFF
	s_cmp_lt_u32 s82, s66                                      // 00000000DDD0: BF0A4252
	s_cselect_b32 s21, s36, s60                                // 00000000DDD4: 85153C24
	s_mov_b64 exec, s[20:21]                                   // 00000000DDD8: BEFE0114
	buffer_store_dword v69, v6, s[8:11], 0 offen               // 00000000DDDC: E0701000 80024506
	buffer_store_dword v71, v6, s[8:11], 0 offen offset:128    // 00000000DDE4: E0701080 80024706
	buffer_store_dword v73, v6, s[8:11], 0 offen offset:256    // 00000000DDEC: E0701100 80024906
	buffer_store_dword v75, v6, s[8:11], 0 offen offset:384    // 00000000DDF4: E0701180 80024B06
	s_mov_b64 exec, s[36:37]                                   // 00000000DDFC: BEFE0124
	v_mov_b32_e32 v6, v50                                      // 00000000DE00: 7E0C0332
	s_mov_b64 s[60:61], 0                                      // 00000000DE04: BEBC0180
	v_readlane_b32 s82, v3, 8                                  // 00000000DE08: D2890052 00011103
	s_and_b32 s82, s82, 0xffffff                               // 00000000DE10: 8652FF52 00FFFFFF
	s_cmp_lt_u32 s82, s66                                      // 00000000DE18: BF0A4252
	s_cselect_b32 s20, s36, s60                                // 00000000DE1C: 85143C24
	v_readlane_b32 s82, v3, 9                                  // 00000000DE20: D2890052 00011303
	s_and_b32 s82, s82, 0xffffff                               // 00000000DE28: 8652FF52 00FFFFFF
	s_cmp_lt_u32 s82, s66                                      // 00000000DE30: BF0A4252
	s_cselect_b32 s21, s36, s60                                // 00000000DE34: 85153C24
	s_mov_b64 exec, s[20:21]                                   // 00000000DE38: BEFE0114
	buffer_store_dword v76, v6, s[8:11], 0 offen               // 00000000DE3C: E0701000 80024C06
	buffer_store_dword v78, v6, s[8:11], 0 offen offset:128    // 00000000DE44: E0701080 80024E06
	buffer_store_dword v80, v6, s[8:11], 0 offen offset:256    // 00000000DE4C: E0701100 80025006
	buffer_store_dword v82, v6, s[8:11], 0 offen offset:384    // 00000000DE54: E0701180 80025206
	s_mov_b64 exec, s[36:37]                                   // 00000000DE5C: BEFE0124
	v_mov_b32_e32 v6, v51                                      // 00000000DE60: 7E0C0333
	s_mov_b64 s[60:61], 0                                      // 00000000DE64: BEBC0180
	v_readlane_b32 s82, v3, 10                                 // 00000000DE68: D2890052 00011503
	s_and_b32 s82, s82, 0xffffff                               // 00000000DE70: 8652FF52 00FFFFFF
	s_cmp_lt_u32 s82, s66                                      // 00000000DE78: BF0A4252
	s_cselect_b32 s20, s36, s60                                // 00000000DE7C: 85143C24
	v_readlane_b32 s82, v3, 11                                 // 00000000DE80: D2890052 00011703
	s_and_b32 s82, s82, 0xffffff                               // 00000000DE88: 8652FF52 00FFFFFF
	s_cmp_lt_u32 s82, s66                                      // 00000000DE90: BF0A4252
	s_cselect_b32 s21, s36, s60                                // 00000000DE94: 85153C24
	s_mov_b64 exec, s[20:21]                                   // 00000000DE98: BEFE0114
	buffer_store_dword v77, v6, s[8:11], 0 offen               // 00000000DE9C: E0701000 80024D06
	buffer_store_dword v79, v6, s[8:11], 0 offen offset:128    // 00000000DEA4: E0701080 80024F06
	buffer_store_dword v81, v6, s[8:11], 0 offen offset:256    // 00000000DEAC: E0701100 80025106
	buffer_store_dword v83, v6, s[8:11], 0 offen offset:384    // 00000000DEB4: E0701180 80025306
	s_mov_b64 exec, s[36:37]                                   // 00000000DEBC: BEFE0124
	v_mov_b32_e32 v6, v52                                      // 00000000DEC0: 7E0C0334
	s_mov_b64 s[60:61], 0                                      // 00000000DEC4: BEBC0180
	v_readlane_b32 s82, v3, 12                                 // 00000000DEC8: D2890052 00011903
	s_and_b32 s82, s82, 0xffffff                               // 00000000DED0: 8652FF52 00FFFFFF
	s_cmp_lt_u32 s82, s66                                      // 00000000DED8: BF0A4252
	s_cselect_b32 s20, s36, s60                                // 00000000DEDC: 85143C24
	v_readlane_b32 s82, v3, 13                                 // 00000000DEE0: D2890052 00011B03
	s_and_b32 s82, s82, 0xffffff                               // 00000000DEE8: 8652FF52 00FFFFFF
	s_cmp_lt_u32 s82, s66                                      // 00000000DEF0: BF0A4252
	s_cselect_b32 s21, s36, s60                                // 00000000DEF4: 85153C24
	s_mov_b64 exec, s[20:21]                                   // 00000000DEF8: BEFE0114
	buffer_store_dword v84, v6, s[8:11], 0 offen               // 00000000DEFC: E0701000 80025406
	buffer_store_dword v86, v6, s[8:11], 0 offen offset:128    // 00000000DF04: E0701080 80025606
	buffer_store_dword v88, v6, s[8:11], 0 offen offset:256    // 00000000DF0C: E0701100 80025806
	buffer_store_dword v90, v6, s[8:11], 0 offen offset:384    // 00000000DF14: E0701180 80025A06
	s_mov_b64 exec, s[36:37]                                   // 00000000DF1C: BEFE0124
	v_mov_b32_e32 v6, v53                                      // 00000000DF20: 7E0C0335
	s_mov_b64 s[60:61], 0                                      // 00000000DF24: BEBC0180
	v_readlane_b32 s82, v3, 14                                 // 00000000DF28: D2890052 00011D03
	s_and_b32 s82, s82, 0xffffff                               // 00000000DF30: 8652FF52 00FFFFFF
	s_cmp_lt_u32 s82, s66                                      // 00000000DF38: BF0A4252
	s_cselect_b32 s20, s36, s60                                // 00000000DF3C: 85143C24
	v_readlane_b32 s82, v3, 15                                 // 00000000DF40: D2890052 00011F03
	s_and_b32 s82, s82, 0xffffff                               // 00000000DF48: 8652FF52 00FFFFFF
	s_cmp_lt_u32 s82, s66                                      // 00000000DF50: BF0A4252
	s_cselect_b32 s21, s36, s60                                // 00000000DF54: 85153C24
	s_mov_b64 exec, s[20:21]                                   // 00000000DF58: BEFE0114
	buffer_store_dword v85, v6, s[8:11], 0 offen               // 00000000DF5C: E0701000 80025506
	buffer_store_dword v87, v6, s[8:11], 0 offen offset:128    // 00000000DF64: E0701080 80025706
	buffer_store_dword v89, v6, s[8:11], 0 offen offset:256    // 00000000DF6C: E0701100 80025906
	buffer_store_dword v91, v6, s[8:11], 0 offen offset:384    // 00000000DF74: E0701180 80025B06
	s_mov_b64 exec, s[36:37]                                   // 00000000DF7C: BEFE0124
	s_branch label_32BE                                        // 00000000DF80: BF82055A

000000000000df84 <label_2D64>:
	ds_write_b64 v20, v[60:61]                                 // 00000000DF84: D89A0000 00003C14
	ds_write_b64 v20, v[64:65] offset:8704                     // 00000000DF8C: D89A2200 00004014
	ds_write_b64 v20, v[68:69] offset:17408                    // 00000000DF94: D89A4400 00004414
	ds_write_b64 v20, v[72:73] offset:26112                    // 00000000DF9C: D89A6600 00004814
	ds_write_b64 v20, v[76:77] offset:2176                     // 00000000DFA4: D89A0880 00004C14
	ds_write_b64 v20, v[80:81] offset:10880                    // 00000000DFAC: D89A2A80 00005014
	ds_write_b64 v20, v[84:85] offset:19584                    // 00000000DFB4: D89A4C80 00005414
	ds_write_b64 v20, v[88:89] offset:28288                    // 00000000DFBC: D89A6E80 00005814
	ds_write_b64 v20, v[92:93] offset:4352                     // 00000000DFC4: D89A1100 00005C14
	ds_write_b64 v20, v[96:97] offset:13056                    // 00000000DFCC: D89A3300 00006014
	ds_write_b64 v20, v[100:101] offset:21760                  // 00000000DFD4: D89A5500 00006414
	ds_write_b64 v20, v[104:105] offset:30464                  // 00000000DFDC: D89A7700 00006814
	ds_write_b64 v20, v[108:109] offset:6528                   // 00000000DFE4: D89A1980 00006C14
	ds_write_b64 v20, v[112:113] offset:15232                  // 00000000DFEC: D89A3B80 00007014
	ds_write_b64 v20, v[116:117] offset:23936                  // 00000000DFF4: D89A5D80 00007414
	ds_write_b64 v20, v[120:121] offset:32640                  // 00000000DFFC: D89A7F80 00007814
	v_lshrrev_b32_e32 v4, 5, v0                                // 00000000E004: 20080085
	v_xor_b32_e32 v5, 1, v4                                    // 00000000E008: 2A0A0881
	s_mul_i32 s60, s65, 2                                      // 00000000E00C: 923C8241
	s_cmp_eq_u32 s88, 0                                        // 00000000E010: BF068058
	s_cselect_b32 s61, 1, 4                                    // 00000000E014: 853D8481
	s_mul_i32 s60, s61, s60                                    // 00000000E018: 923C3C3D
	v_readlane_b32 s82, v3, 0                                  // 00000000E01C: D2890052 00010103
	s_lshr_b32 s61, s82, 24                                    // 00000000E024: 8F3D9852
	s_and_b32 s82, s82, 0xffffff                               // 00000000E028: 8652FF52 00FFFFFF
	s_mul_i32 s82, s82, s71                                    // 00000000E030: 92524752
	s_mul_i32 s61, s60, s61                                    // 00000000E034: 923D3D3C
	s_add_u32 s82, s82, s61                                    // 00000000E038: 80523D52
	v_mul_lo_u32 v6, v5, s82                                   // 00000000E03C: D2850006 0000A505
	v_readlane_b32 s82, v3, 1                                  // 00000000E044: D2890052 00010303
	s_lshr_b32 s61, s82, 24                                    // 00000000E04C: 8F3D9852
	s_and_b32 s82, s82, 0xffffff                               // 00000000E050: 8652FF52 00FFFFFF
	s_mul_i32 s82, s82, s71                                    // 00000000E058: 92524752
	s_mul_i32 s61, s60, s61                                    // 00000000E05C: 923D3D3C
	s_add_u32 s82, s82, s61                                    // 00000000E060: 80523D52
	v_mul_lo_u32 v7, v4, s82                                   // 00000000E064: D2850007 0000A504
	v_add_u32_e32 v46, v6, v7                                  // 00000000E06C: 685C0F06
	v_readlane_b32 s82, v3, 2                                  // 00000000E070: D2890052 00010503
	s_lshr_b32 s61, s82, 24                                    // 00000000E078: 8F3D9852
	s_and_b32 s82, s82, 0xffffff                               // 00000000E07C: 8652FF52 00FFFFFF
	s_mul_i32 s82, s82, s71                                    // 00000000E084: 92524752
	s_mul_i32 s61, s60, s61                                    // 00000000E088: 923D3D3C
	s_add_u32 s82, s82, s61                                    // 00000000E08C: 80523D52
	v_mul_lo_u32 v6, v5, s82                                   // 00000000E090: D2850006 0000A505
	v_readlane_b32 s82, v3, 3                                  // 00000000E098: D2890052 00010703
	s_lshr_b32 s61, s82, 24                                    // 00000000E0A0: 8F3D9852
	s_and_b32 s82, s82, 0xffffff                               // 00000000E0A4: 8652FF52 00FFFFFF
	s_mul_i32 s82, s82, s71                                    // 00000000E0AC: 92524752
	s_mul_i32 s61, s60, s61                                    // 00000000E0B0: 923D3D3C
	s_add_u32 s82, s82, s61                                    // 00000000E0B4: 80523D52
	v_mul_lo_u32 v7, v4, s82                                   // 00000000E0B8: D2850007 0000A504
	v_add_u32_e32 v47, v6, v7                                  // 00000000E0C0: 685E0F06
	v_readlane_b32 s82, v3, 4                                  // 00000000E0C4: D2890052 00010903
	s_lshr_b32 s61, s82, 24                                    // 00000000E0CC: 8F3D9852
	s_and_b32 s82, s82, 0xffffff                               // 00000000E0D0: 8652FF52 00FFFFFF
	s_mul_i32 s82, s82, s71                                    // 00000000E0D8: 92524752
	s_mul_i32 s61, s60, s61                                    // 00000000E0DC: 923D3D3C
	s_add_u32 s82, s82, s61                                    // 00000000E0E0: 80523D52
	v_mul_lo_u32 v6, v5, s82                                   // 00000000E0E4: D2850006 0000A505
	v_readlane_b32 s82, v3, 5                                  // 00000000E0EC: D2890052 00010B03
	s_lshr_b32 s61, s82, 24                                    // 00000000E0F4: 8F3D9852
	s_and_b32 s82, s82, 0xffffff                               // 00000000E0F8: 8652FF52 00FFFFFF
	s_mul_i32 s82, s82, s71                                    // 00000000E100: 92524752
	s_mul_i32 s61, s60, s61                                    // 00000000E104: 923D3D3C
	s_add_u32 s82, s82, s61                                    // 00000000E108: 80523D52
	v_mul_lo_u32 v7, v4, s82                                   // 00000000E10C: D2850007 0000A504
	v_add_u32_e32 v48, v6, v7                                  // 00000000E114: 68600F06
	v_readlane_b32 s82, v3, 6                                  // 00000000E118: D2890052 00010D03
	s_lshr_b32 s61, s82, 24                                    // 00000000E120: 8F3D9852
	s_and_b32 s82, s82, 0xffffff                               // 00000000E124: 8652FF52 00FFFFFF
	s_mul_i32 s82, s82, s71                                    // 00000000E12C: 92524752
	s_mul_i32 s61, s60, s61                                    // 00000000E130: 923D3D3C
	s_add_u32 s82, s82, s61                                    // 00000000E134: 80523D52
	v_mul_lo_u32 v6, v5, s82                                   // 00000000E138: D2850006 0000A505
	v_readlane_b32 s82, v3, 7                                  // 00000000E140: D2890052 00010F03
	s_lshr_b32 s61, s82, 24                                    // 00000000E148: 8F3D9852
	s_and_b32 s82, s82, 0xffffff                               // 00000000E14C: 8652FF52 00FFFFFF
	s_mul_i32 s82, s82, s71                                    // 00000000E154: 92524752
	s_mul_i32 s61, s60, s61                                    // 00000000E158: 923D3D3C
	s_add_u32 s82, s82, s61                                    // 00000000E15C: 80523D52
	v_mul_lo_u32 v7, v4, s82                                   // 00000000E160: D2850007 0000A504
	v_add_u32_e32 v49, v6, v7                                  // 00000000E168: 68620F06
	v_readlane_b32 s82, v3, 8                                  // 00000000E16C: D2890052 00011103
	s_lshr_b32 s61, s82, 24                                    // 00000000E174: 8F3D9852
	s_and_b32 s82, s82, 0xffffff                               // 00000000E178: 8652FF52 00FFFFFF
	s_mul_i32 s82, s82, s71                                    // 00000000E180: 92524752
	s_mul_i32 s61, s60, s61                                    // 00000000E184: 923D3D3C
	s_add_u32 s82, s82, s61                                    // 00000000E188: 80523D52
	v_mul_lo_u32 v6, v5, s82                                   // 00000000E18C: D2850006 0000A505
	v_readlane_b32 s82, v3, 9                                  // 00000000E194: D2890052 00011303
	s_lshr_b32 s61, s82, 24                                    // 00000000E19C: 8F3D9852
	s_and_b32 s82, s82, 0xffffff                               // 00000000E1A0: 8652FF52 00FFFFFF
	s_mul_i32 s82, s82, s71                                    // 00000000E1A8: 92524752
	s_mul_i32 s61, s60, s61                                    // 00000000E1AC: 923D3D3C
	s_add_u32 s82, s82, s61                                    // 00000000E1B0: 80523D52
	v_mul_lo_u32 v7, v4, s82                                   // 00000000E1B4: D2850007 0000A504
	v_add_u32_e32 v50, v6, v7                                  // 00000000E1BC: 68640F06
	v_readlane_b32 s82, v3, 10                                 // 00000000E1C0: D2890052 00011503
	s_lshr_b32 s61, s82, 24                                    // 00000000E1C8: 8F3D9852
	s_and_b32 s82, s82, 0xffffff                               // 00000000E1CC: 8652FF52 00FFFFFF
	s_mul_i32 s82, s82, s71                                    // 00000000E1D4: 92524752
	s_mul_i32 s61, s60, s61                                    // 00000000E1D8: 923D3D3C
	s_add_u32 s82, s82, s61                                    // 00000000E1DC: 80523D52
	v_mul_lo_u32 v6, v5, s82                                   // 00000000E1E0: D2850006 0000A505
	v_readlane_b32 s82, v3, 11                                 // 00000000E1E8: D2890052 00011703
	s_lshr_b32 s61, s82, 24                                    // 00000000E1F0: 8F3D9852
	s_and_b32 s82, s82, 0xffffff                               // 00000000E1F4: 8652FF52 00FFFFFF
	s_mul_i32 s82, s82, s71                                    // 00000000E1FC: 92524752
	s_mul_i32 s61, s60, s61                                    // 00000000E200: 923D3D3C
	s_add_u32 s82, s82, s61                                    // 00000000E204: 80523D52
	v_mul_lo_u32 v7, v4, s82                                   // 00000000E208: D2850007 0000A504
	v_add_u32_e32 v51, v6, v7                                  // 00000000E210: 68660F06
	v_readlane_b32 s82, v3, 12                                 // 00000000E214: D2890052 00011903
	s_lshr_b32 s61, s82, 24                                    // 00000000E21C: 8F3D9852
	s_and_b32 s82, s82, 0xffffff                               // 00000000E220: 8652FF52 00FFFFFF
	s_mul_i32 s82, s82, s71                                    // 00000000E228: 92524752
	s_mul_i32 s61, s60, s61                                    // 00000000E22C: 923D3D3C
	s_add_u32 s82, s82, s61                                    // 00000000E230: 80523D52
	v_mul_lo_u32 v6, v5, s82                                   // 00000000E234: D2850006 0000A505
	v_readlane_b32 s82, v3, 13                                 // 00000000E23C: D2890052 00011B03
	s_lshr_b32 s61, s82, 24                                    // 00000000E244: 8F3D9852
	s_and_b32 s82, s82, 0xffffff                               // 00000000E248: 8652FF52 00FFFFFF
	s_mul_i32 s82, s82, s71                                    // 00000000E250: 92524752
	s_mul_i32 s61, s60, s61                                    // 00000000E254: 923D3D3C
	s_add_u32 s82, s82, s61                                    // 00000000E258: 80523D52
	v_mul_lo_u32 v7, v4, s82                                   // 00000000E25C: D2850007 0000A504
	v_add_u32_e32 v52, v6, v7                                  // 00000000E264: 68680F06
	v_readlane_b32 s82, v3, 14                                 // 00000000E268: D2890052 00011D03
	s_lshr_b32 s61, s82, 24                                    // 00000000E270: 8F3D9852
	s_and_b32 s82, s82, 0xffffff                               // 00000000E274: 8652FF52 00FFFFFF
	s_mul_i32 s82, s82, s71                                    // 00000000E27C: 92524752
	s_mul_i32 s61, s60, s61                                    // 00000000E280: 923D3D3C
	s_add_u32 s82, s82, s61                                    // 00000000E284: 80523D52
	v_mul_lo_u32 v6, v5, s82                                   // 00000000E288: D2850006 0000A505
	v_readlane_b32 s82, v3, 15                                 // 00000000E290: D2890052 00011F03
	s_lshr_b32 s61, s82, 24                                    // 00000000E298: 8F3D9852
	s_and_b32 s82, s82, 0xffffff                               // 00000000E29C: 8652FF52 00FFFFFF
	s_mul_i32 s82, s82, s71                                    // 00000000E2A4: 92524752
	s_mul_i32 s61, s60, s61                                    // 00000000E2A8: 923D3D3C
	s_add_u32 s82, s82, s61                                    // 00000000E2AC: 80523D52
	v_mul_lo_u32 v7, v4, s82                                   // 00000000E2B0: D2850007 0000A504
	v_add_u32_e32 v53, v6, v7                                  // 00000000E2B8: 686A0F06
	v_and_b32_e32 v4, 31, v0                                   // 00000000E2BC: 2608009F
	v_lshrrev_b32_e32 v4, 1, v4                                // 00000000E2C0: 20080881
	s_cmp_eq_u32 s88, 0                                        // 00000000E2C4: BF068058
	s_cselect_b32 s61, 2, 4                                    // 00000000E2C8: 853D8482
	v_mul_lo_u32 v4, v4, s61                                   // 00000000E2CC: D2850004 00007B04
	v_and_b32_e64 v5, v0, 1                                    // 00000000E2D4: D1130005 00010300
	v_add_u32_e32 v4, v4, v5                                   // 00000000E2DC: 68080B04
	v_lshlrev_b32_e32 v4, 2, v4                                // 00000000E2E0: 24080882
	v_add_u32_e32 v46, v46, v4                                 // 00000000E2E4: 685C092E
	v_add_u32_e32 v47, v47, v4                                 // 00000000E2E8: 685E092F
	v_add_u32_e32 v48, v48, v4                                 // 00000000E2EC: 68600930
	v_add_u32_e32 v49, v49, v4                                 // 00000000E2F0: 68620931
	v_add_u32_e32 v50, v50, v4                                 // 00000000E2F4: 68640932
	v_add_u32_e32 v51, v51, v4                                 // 00000000E2F8: 68660933
	v_add_u32_e32 v52, v52, v4                                 // 00000000E2FC: 68680934
	v_add_u32_e32 v53, v53, v4                                 // 00000000E300: 686A0935
	s_waitcnt lgkmcnt(0)                                       // 00000000E304: BF8CC07F
	s_barrier                                                  // 00000000E308: BF8A0000
	ds_read_b32 v60, v21                                       // 00000000E30C: D86C0000 3C000015
	ds_read_b32 v61, v21 offset:64                             // 00000000E314: D86C0040 3D000015
	ds_read_b32 v64, v21 offset:2176                           // 00000000E31C: D86C0880 40000015
	ds_read_b32 v65, v21 offset:2240                           // 00000000E324: D86C08C0 41000015
	ds_read_b32 v68, v21 offset:4352                           // 00000000E32C: D86C1100 44000015
	ds_read_b32 v69, v21 offset:4416                           // 00000000E334: D86C1140 45000015
	ds_read_b32 v72, v21 offset:6528                           // 00000000E33C: D86C1980 48000015
	ds_read_b32 v73, v21 offset:6592                           // 00000000E344: D86C19C0 49000015
	ds_read_b32 v76, v21 offset:8704                           // 00000000E34C: D86C2200 4C000015
	ds_read_b32 v77, v21 offset:8768                           // 00000000E354: D86C2240 4D000015
	ds_read_b32 v80, v21 offset:10880                          // 00000000E35C: D86C2A80 50000015
	ds_read_b32 v81, v21 offset:10944                          // 00000000E364: D86C2AC0 51000015
	ds_read_b32 v84, v21 offset:13056                          // 00000000E36C: D86C3300 54000015
	ds_read_b32 v85, v21 offset:13120                          // 00000000E374: D86C3340 55000015
	ds_read_b32 v88, v21 offset:15232                          // 00000000E37C: D86C3B80 58000015
	ds_read_b32 v89, v21 offset:15296                          // 00000000E384: D86C3BC0 59000015
	ds_read_b32 v92, v21 offset:17408                          // 00000000E38C: D86C4400 5C000015
	ds_read_b32 v93, v21 offset:17472                          // 00000000E394: D86C4440 5D000015
	ds_read_b32 v96, v21 offset:19584                          // 00000000E39C: D86C4C80 60000015
	ds_read_b32 v97, v21 offset:19648                          // 00000000E3A4: D86C4CC0 61000015
	ds_read_b32 v100, v21 offset:21760                         // 00000000E3AC: D86C5500 64000015
	ds_read_b32 v101, v21 offset:21824                         // 00000000E3B4: D86C5540 65000015
	ds_read_b32 v104, v21 offset:23936                         // 00000000E3BC: D86C5D80 68000015
	ds_read_b32 v105, v21 offset:24000                         // 00000000E3C4: D86C5DC0 69000015
	ds_read_b32 v108, v21 offset:26112                         // 00000000E3CC: D86C6600 6C000015
	ds_read_b32 v109, v21 offset:26176                         // 00000000E3D4: D86C6640 6D000015
	ds_read_b32 v112, v21 offset:28288                         // 00000000E3DC: D86C6E80 70000015
	ds_read_b32 v113, v21 offset:28352                         // 00000000E3E4: D86C6EC0 71000015
	ds_read_b32 v116, v21 offset:30464                         // 00000000E3EC: D86C7700 74000015
	ds_read_b32 v117, v21 offset:30528                         // 00000000E3F4: D86C7740 75000015
	ds_read_b32 v120, v21 offset:32640                         // 00000000E3FC: D86C7F80 78000015
	ds_read_b32 v121, v21 offset:32704                         // 00000000E404: D86C7FC0 79000015
	s_waitcnt lgkmcnt(0)                                       // 00000000E40C: BF8CC07F
	s_mov_b32 s36, -1                                          // 00000000E410: BEA400C1
	s_mov_b32 s37, -1                                          // 00000000E414: BEA500C1
	v_mov_b32_e32 v7, 0                                        // 00000000E418: 7E0E0280
	s_mov_b64 exec, s[36:37]                                   // 00000000E41C: BEFE0124
	v_mov_b32_e32 v6, v46                                      // 00000000E420: 7E0C032E
	s_mov_b64 s[60:61], 0                                      // 00000000E424: BEBC0180
	v_readlane_b32 s82, v3, 0                                  // 00000000E428: D2890052 00010103
	s_and_b32 s82, s82, 0xffffff                               // 00000000E430: 8652FF52 00FFFFFF
	s_cmp_lt_u32 s82, s66                                      // 00000000E438: BF0A4252
	s_cselect_b32 s20, s36, s60                                // 00000000E43C: 85143C24
	v_readlane_b32 s82, v3, 1                                  // 00000000E440: D2890052 00010303
	s_and_b32 s82, s82, 0xffffff                               // 00000000E448: 8652FF52 00FFFFFF
	s_cmp_lt_u32 s82, s66                                      // 00000000E450: BF0A4252
	s_cselect_b32 s21, s36, s60                                // 00000000E454: 85153C24
	s_mov_b64 exec, s[20:21]                                   // 00000000E458: BEFE0114
	global_atomic_add_f32 v6, v60, s[8:9]                      // 00000000E45C: DD348000 00083C06
	global_atomic_add_f32 v6, v64, s[8:9] offset:256           // 00000000E464: DD348100 00084006
	global_atomic_add_f32 v6, v68, s[8:9] offset:512           // 00000000E46C: DD348200 00084406
	global_atomic_add_f32 v6, v72, s[8:9] offset:768           // 00000000E474: DD348300 00084806
	s_mov_b64 exec, s[36:37]                                   // 00000000E47C: BEFE0124
	v_mov_b32_e32 v6, v47                                      // 00000000E480: 7E0C032F
	s_mov_b64 s[60:61], 0                                      // 00000000E484: BEBC0180
	v_readlane_b32 s82, v3, 2                                  // 00000000E488: D2890052 00010503
	s_and_b32 s82, s82, 0xffffff                               // 00000000E490: 8652FF52 00FFFFFF
	s_cmp_lt_u32 s82, s66                                      // 00000000E498: BF0A4252
	s_cselect_b32 s20, s36, s60                                // 00000000E49C: 85143C24
	v_readlane_b32 s82, v3, 3                                  // 00000000E4A0: D2890052 00010703
	s_and_b32 s82, s82, 0xffffff                               // 00000000E4A8: 8652FF52 00FFFFFF
	s_cmp_lt_u32 s82, s66                                      // 00000000E4B0: BF0A4252
	s_cselect_b32 s21, s36, s60                                // 00000000E4B4: 85153C24
	s_mov_b64 exec, s[20:21]                                   // 00000000E4B8: BEFE0114
	global_atomic_add_f32 v6, v61, s[8:9]                      // 00000000E4BC: DD348000 00083D06
	global_atomic_add_f32 v6, v65, s[8:9] offset:256           // 00000000E4C4: DD348100 00084106
	global_atomic_add_f32 v6, v69, s[8:9] offset:512           // 00000000E4CC: DD348200 00084506
	global_atomic_add_f32 v6, v73, s[8:9] offset:768           // 00000000E4D4: DD348300 00084906
	s_mov_b64 exec, s[36:37]                                   // 00000000E4DC: BEFE0124
	v_mov_b32_e32 v6, v48                                      // 00000000E4E0: 7E0C0330
	s_mov_b64 s[60:61], 0                                      // 00000000E4E4: BEBC0180
	v_readlane_b32 s82, v3, 4                                  // 00000000E4E8: D2890052 00010903
	s_and_b32 s82, s82, 0xffffff                               // 00000000E4F0: 8652FF52 00FFFFFF
	s_cmp_lt_u32 s82, s66                                      // 00000000E4F8: BF0A4252
	s_cselect_b32 s20, s36, s60                                // 00000000E4FC: 85143C24
	v_readlane_b32 s82, v3, 5                                  // 00000000E500: D2890052 00010B03
	s_and_b32 s82, s82, 0xffffff                               // 00000000E508: 8652FF52 00FFFFFF
	s_cmp_lt_u32 s82, s66                                      // 00000000E510: BF0A4252
	s_cselect_b32 s21, s36, s60                                // 00000000E514: 85153C24
	s_mov_b64 exec, s[20:21]                                   // 00000000E518: BEFE0114
	global_atomic_add_f32 v6, v76, s[8:9]                      // 00000000E51C: DD348000 00084C06
	global_atomic_add_f32 v6, v80, s[8:9] offset:256           // 00000000E524: DD348100 00085006
	global_atomic_add_f32 v6, v84, s[8:9] offset:512           // 00000000E52C: DD348200 00085406
	global_atomic_add_f32 v6, v88, s[8:9] offset:768           // 00000000E534: DD348300 00085806
	s_mov_b64 exec, s[36:37]                                   // 00000000E53C: BEFE0124
	v_mov_b32_e32 v6, v49                                      // 00000000E540: 7E0C0331
	s_mov_b64 s[60:61], 0                                      // 00000000E544: BEBC0180
	v_readlane_b32 s82, v3, 6                                  // 00000000E548: D2890052 00010D03
	s_and_b32 s82, s82, 0xffffff                               // 00000000E550: 8652FF52 00FFFFFF
	s_cmp_lt_u32 s82, s66                                      // 00000000E558: BF0A4252
	s_cselect_b32 s20, s36, s60                                // 00000000E55C: 85143C24
	v_readlane_b32 s82, v3, 7                                  // 00000000E560: D2890052 00010F03
	s_and_b32 s82, s82, 0xffffff                               // 00000000E568: 8652FF52 00FFFFFF
	s_cmp_lt_u32 s82, s66                                      // 00000000E570: BF0A4252
	s_cselect_b32 s21, s36, s60                                // 00000000E574: 85153C24
	s_mov_b64 exec, s[20:21]                                   // 00000000E578: BEFE0114
	global_atomic_add_f32 v6, v77, s[8:9]                      // 00000000E57C: DD348000 00084D06
	global_atomic_add_f32 v6, v81, s[8:9] offset:256           // 00000000E584: DD348100 00085106
	global_atomic_add_f32 v6, v85, s[8:9] offset:512           // 00000000E58C: DD348200 00085506
	global_atomic_add_f32 v6, v89, s[8:9] offset:768           // 00000000E594: DD348300 00085906
	s_mov_b64 exec, s[36:37]                                   // 00000000E59C: BEFE0124
	v_mov_b32_e32 v6, v50                                      // 00000000E5A0: 7E0C0332
	s_mov_b64 s[60:61], 0                                      // 00000000E5A4: BEBC0180
	v_readlane_b32 s82, v3, 8                                  // 00000000E5A8: D2890052 00011103
	s_and_b32 s82, s82, 0xffffff                               // 00000000E5B0: 8652FF52 00FFFFFF
	s_cmp_lt_u32 s82, s66                                      // 00000000E5B8: BF0A4252
	s_cselect_b32 s20, s36, s60                                // 00000000E5BC: 85143C24
	v_readlane_b32 s82, v3, 9                                  // 00000000E5C0: D2890052 00011303
	s_and_b32 s82, s82, 0xffffff                               // 00000000E5C8: 8652FF52 00FFFFFF
	s_cmp_lt_u32 s82, s66                                      // 00000000E5D0: BF0A4252
	s_cselect_b32 s21, s36, s60                                // 00000000E5D4: 85153C24
	s_mov_b64 exec, s[20:21]                                   // 00000000E5D8: BEFE0114
	global_atomic_add_f32 v6, v92, s[8:9]                      // 00000000E5DC: DD348000 00085C06
	global_atomic_add_f32 v6, v96, s[8:9] offset:256           // 00000000E5E4: DD348100 00086006
	global_atomic_add_f32 v6, v100, s[8:9] offset:512          // 00000000E5EC: DD348200 00086406
	global_atomic_add_f32 v6, v104, s[8:9] offset:768          // 00000000E5F4: DD348300 00086806
	s_mov_b64 exec, s[36:37]                                   // 00000000E5FC: BEFE0124
	v_mov_b32_e32 v6, v51                                      // 00000000E600: 7E0C0333
	s_mov_b64 s[60:61], 0                                      // 00000000E604: BEBC0180
	v_readlane_b32 s82, v3, 10                                 // 00000000E608: D2890052 00011503
	s_and_b32 s82, s82, 0xffffff                               // 00000000E610: 8652FF52 00FFFFFF
	s_cmp_lt_u32 s82, s66                                      // 00000000E618: BF0A4252
	s_cselect_b32 s20, s36, s60                                // 00000000E61C: 85143C24
	v_readlane_b32 s82, v3, 11                                 // 00000000E620: D2890052 00011703
	s_and_b32 s82, s82, 0xffffff                               // 00000000E628: 8652FF52 00FFFFFF
	s_cmp_lt_u32 s82, s66                                      // 00000000E630: BF0A4252
	s_cselect_b32 s21, s36, s60                                // 00000000E634: 85153C24
	s_mov_b64 exec, s[20:21]                                   // 00000000E638: BEFE0114
	global_atomic_add_f32 v6, v93, s[8:9]                      // 00000000E63C: DD348000 00085D06
	global_atomic_add_f32 v6, v97, s[8:9] offset:256           // 00000000E644: DD348100 00086106
	global_atomic_add_f32 v6, v101, s[8:9] offset:512          // 00000000E64C: DD348200 00086506
	global_atomic_add_f32 v6, v105, s[8:9] offset:768          // 00000000E654: DD348300 00086906
	s_mov_b64 exec, s[36:37]                                   // 00000000E65C: BEFE0124
	v_mov_b32_e32 v6, v52                                      // 00000000E660: 7E0C0334
	s_mov_b64 s[60:61], 0                                      // 00000000E664: BEBC0180
	v_readlane_b32 s82, v3, 12                                 // 00000000E668: D2890052 00011903
	s_and_b32 s82, s82, 0xffffff                               // 00000000E670: 8652FF52 00FFFFFF
	s_cmp_lt_u32 s82, s66                                      // 00000000E678: BF0A4252
	s_cselect_b32 s20, s36, s60                                // 00000000E67C: 85143C24
	v_readlane_b32 s82, v3, 13                                 // 00000000E680: D2890052 00011B03
	s_and_b32 s82, s82, 0xffffff                               // 00000000E688: 8652FF52 00FFFFFF
	s_cmp_lt_u32 s82, s66                                      // 00000000E690: BF0A4252
	s_cselect_b32 s21, s36, s60                                // 00000000E694: 85153C24
	s_mov_b64 exec, s[20:21]                                   // 00000000E698: BEFE0114
	global_atomic_add_f32 v6, v108, s[8:9]                     // 00000000E69C: DD348000 00086C06
	global_atomic_add_f32 v6, v112, s[8:9] offset:256          // 00000000E6A4: DD348100 00087006
	global_atomic_add_f32 v6, v116, s[8:9] offset:512          // 00000000E6AC: DD348200 00087406
	global_atomic_add_f32 v6, v120, s[8:9] offset:768          // 00000000E6B4: DD348300 00087806
	s_mov_b64 exec, s[36:37]                                   // 00000000E6BC: BEFE0124
	v_mov_b32_e32 v6, v53                                      // 00000000E6C0: 7E0C0335
	s_mov_b64 s[60:61], 0                                      // 00000000E6C4: BEBC0180
	v_readlane_b32 s82, v3, 14                                 // 00000000E6C8: D2890052 00011D03
	s_and_b32 s82, s82, 0xffffff                               // 00000000E6D0: 8652FF52 00FFFFFF
	s_cmp_lt_u32 s82, s66                                      // 00000000E6D8: BF0A4252
	s_cselect_b32 s20, s36, s60                                // 00000000E6DC: 85143C24
	v_readlane_b32 s82, v3, 15                                 // 00000000E6E0: D2890052 00011F03
	s_and_b32 s82, s82, 0xffffff                               // 00000000E6E8: 8652FF52 00FFFFFF
	s_cmp_lt_u32 s82, s66                                      // 00000000E6F0: BF0A4252
	s_cselect_b32 s21, s36, s60                                // 00000000E6F4: 85153C24
	s_mov_b64 exec, s[20:21]                                   // 00000000E6F8: BEFE0114
	global_atomic_add_f32 v6, v109, s[8:9]                     // 00000000E6FC: DD348000 00086D06
	global_atomic_add_f32 v6, v113, s[8:9] offset:256          // 00000000E704: DD348100 00087106
	global_atomic_add_f32 v6, v117, s[8:9] offset:512          // 00000000E70C: DD348200 00087506
	global_atomic_add_f32 v6, v121, s[8:9] offset:768          // 00000000E714: DD348300 00087906
	s_mov_b64 exec, s[36:37]                                   // 00000000E71C: BEFE0124
	ds_write_b64 v20, v[62:63]                                 // 00000000E720: D89A0000 00003E14
	ds_write_b64 v20, v[66:67] offset:8704                     // 00000000E728: D89A2200 00004214
	ds_write_b64 v20, v[70:71] offset:17408                    // 00000000E730: D89A4400 00004614
	ds_write_b64 v20, v[74:75] offset:26112                    // 00000000E738: D89A6600 00004A14
	ds_write_b64 v20, v[78:79] offset:2176                     // 00000000E740: D89A0880 00004E14
	ds_write_b64 v20, v[82:83] offset:10880                    // 00000000E748: D89A2A80 00005214
	ds_write_b64 v20, v[86:87] offset:19584                    // 00000000E750: D89A4C80 00005614
	ds_write_b64 v20, v[90:91] offset:28288                    // 00000000E758: D89A6E80 00005A14
	ds_write_b64 v20, v[94:95] offset:4352                     // 00000000E760: D89A1100 00005E14
	ds_write_b64 v20, v[98:99] offset:13056                    // 00000000E768: D89A3300 00006214
	ds_write_b64 v20, v[102:103] offset:21760                  // 00000000E770: D89A5500 00006614
	ds_write_b64 v20, v[106:107] offset:30464                  // 00000000E778: D89A7700 00006A14
	ds_write_b64 v20, v[110:111] offset:6528                   // 00000000E780: D89A1980 00006E14
	ds_write_b64 v20, v[114:115] offset:15232                  // 00000000E788: D89A3B80 00007214
	ds_write_b64 v20, v[118:119] offset:23936                  // 00000000E790: D89A5D80 00007614
	ds_write_b64 v20, v[122:123] offset:32640                  // 00000000E798: D89A7F80 00007A14
	s_waitcnt lgkmcnt(0)                                       // 00000000E7A0: BF8CC07F
	s_barrier                                                  // 00000000E7A4: BF8A0000
	ds_read_b32 v62, v21                                       // 00000000E7A8: D86C0000 3E000015
	ds_read_b32 v63, v21 offset:64                             // 00000000E7B0: D86C0040 3F000015
	ds_read_b32 v66, v21 offset:2176                           // 00000000E7B8: D86C0880 42000015
	ds_read_b32 v67, v21 offset:2240                           // 00000000E7C0: D86C08C0 43000015
	ds_read_b32 v70, v21 offset:4352                           // 00000000E7C8: D86C1100 46000015
	ds_read_b32 v71, v21 offset:4416                           // 00000000E7D0: D86C1140 47000015
	ds_read_b32 v74, v21 offset:6528                           // 00000000E7D8: D86C1980 4A000015
	ds_read_b32 v75, v21 offset:6592                           // 00000000E7E0: D86C19C0 4B000015
	ds_read_b32 v78, v21 offset:8704                           // 00000000E7E8: D86C2200 4E000015
	ds_read_b32 v79, v21 offset:8768                           // 00000000E7F0: D86C2240 4F000015
	ds_read_b32 v82, v21 offset:10880                          // 00000000E7F8: D86C2A80 52000015
	ds_read_b32 v83, v21 offset:10944                          // 00000000E800: D86C2AC0 53000015
	ds_read_b32 v86, v21 offset:13056                          // 00000000E808: D86C3300 56000015
	ds_read_b32 v87, v21 offset:13120                          // 00000000E810: D86C3340 57000015
	ds_read_b32 v90, v21 offset:15232                          // 00000000E818: D86C3B80 5A000015
	ds_read_b32 v91, v21 offset:15296                          // 00000000E820: D86C3BC0 5B000015
	ds_read_b32 v94, v21 offset:17408                          // 00000000E828: D86C4400 5E000015
	ds_read_b32 v95, v21 offset:17472                          // 00000000E830: D86C4440 5F000015
	ds_read_b32 v98, v21 offset:19584                          // 00000000E838: D86C4C80 62000015
	ds_read_b32 v99, v21 offset:19648                          // 00000000E840: D86C4CC0 63000015
	ds_read_b32 v102, v21 offset:21760                         // 00000000E848: D86C5500 66000015
	ds_read_b32 v103, v21 offset:21824                         // 00000000E850: D86C5540 67000015
	ds_read_b32 v106, v21 offset:23936                         // 00000000E858: D86C5D80 6A000015
	ds_read_b32 v107, v21 offset:24000                         // 00000000E860: D86C5DC0 6B000015
	ds_read_b32 v110, v21 offset:26112                         // 00000000E868: D86C6600 6E000015
	ds_read_b32 v111, v21 offset:26176                         // 00000000E870: D86C6640 6F000015
	ds_read_b32 v114, v21 offset:28288                         // 00000000E878: D86C6E80 72000015
	ds_read_b32 v115, v21 offset:28352                         // 00000000E880: D86C6EC0 73000015
	ds_read_b32 v118, v21 offset:30464                         // 00000000E888: D86C7700 76000015
	ds_read_b32 v119, v21 offset:30528                         // 00000000E890: D86C7740 77000015
	ds_read_b32 v122, v21 offset:32640                         // 00000000E898: D86C7F80 7A000015
	ds_read_b32 v123, v21 offset:32704                         // 00000000E8A0: D86C7FC0 7B000015
	s_waitcnt lgkmcnt(0)                                       // 00000000E8A8: BF8CC07F
	v_mov_b32_e32 v7, 0                                        // 00000000E8AC: 7E0E0280
	s_mov_b64 exec, s[36:37]                                   // 00000000E8B0: BEFE0124
	v_mov_b32_e32 v6, v46                                      // 00000000E8B4: 7E0C032E
	s_mov_b64 s[60:61], 0                                      // 00000000E8B8: BEBC0180
	v_readlane_b32 s82, v3, 0                                  // 00000000E8BC: D2890052 00010103
	s_and_b32 s82, s82, 0xffffff                               // 00000000E8C4: 8652FF52 00FFFFFF
	s_cmp_lt_u32 s82, s66                                      // 00000000E8CC: BF0A4252
	s_cselect_b32 s20, s36, s60                                // 00000000E8D0: 85143C24
	v_readlane_b32 s82, v3, 1                                  // 00000000E8D4: D2890052 00010303
	s_and_b32 s82, s82, 0xffffff                               // 00000000E8DC: 8652FF52 00FFFFFF
	s_cmp_lt_u32 s82, s66                                      // 00000000E8E4: BF0A4252
	s_cselect_b32 s21, s36, s60                                // 00000000E8E8: 85153C24
	s_mov_b64 exec, s[20:21]                                   // 00000000E8EC: BEFE0114
	global_atomic_add_f32 v6, v62, s[8:9] offset:8             // 00000000E8F0: DD348008 00083E06
	global_atomic_add_f32 v6, v66, s[8:9] offset:264           // 00000000E8F8: DD348108 00084206
	global_atomic_add_f32 v6, v70, s[8:9] offset:520           // 00000000E900: DD348208 00084606
	global_atomic_add_f32 v6, v74, s[8:9] offset:776           // 00000000E908: DD348308 00084A06
	s_mov_b64 exec, s[36:37]                                   // 00000000E910: BEFE0124
	v_mov_b32_e32 v6, v47                                      // 00000000E914: 7E0C032F
	s_mov_b64 s[60:61], 0                                      // 00000000E918: BEBC0180
	v_readlane_b32 s82, v3, 2                                  // 00000000E91C: D2890052 00010503
	s_and_b32 s82, s82, 0xffffff                               // 00000000E924: 8652FF52 00FFFFFF
	s_cmp_lt_u32 s82, s66                                      // 00000000E92C: BF0A4252
	s_cselect_b32 s20, s36, s60                                // 00000000E930: 85143C24
	v_readlane_b32 s82, v3, 3                                  // 00000000E934: D2890052 00010703
	s_and_b32 s82, s82, 0xffffff                               // 00000000E93C: 8652FF52 00FFFFFF
	s_cmp_lt_u32 s82, s66                                      // 00000000E944: BF0A4252
	s_cselect_b32 s21, s36, s60                                // 00000000E948: 85153C24
	s_mov_b64 exec, s[20:21]                                   // 00000000E94C: BEFE0114
	global_atomic_add_f32 v6, v63, s[8:9] offset:8             // 00000000E950: DD348008 00083F06
	global_atomic_add_f32 v6, v67, s[8:9] offset:264           // 00000000E958: DD348108 00084306
	global_atomic_add_f32 v6, v71, s[8:9] offset:520           // 00000000E960: DD348208 00084706
	global_atomic_add_f32 v6, v75, s[8:9] offset:776           // 00000000E968: DD348308 00084B06
	s_mov_b64 exec, s[36:37]                                   // 00000000E970: BEFE0124
	v_mov_b32_e32 v6, v48                                      // 00000000E974: 7E0C0330
	s_mov_b64 s[60:61], 0                                      // 00000000E978: BEBC0180
	v_readlane_b32 s82, v3, 4                                  // 00000000E97C: D2890052 00010903
	s_and_b32 s82, s82, 0xffffff                               // 00000000E984: 8652FF52 00FFFFFF
	s_cmp_lt_u32 s82, s66                                      // 00000000E98C: BF0A4252
	s_cselect_b32 s20, s36, s60                                // 00000000E990: 85143C24
	v_readlane_b32 s82, v3, 5                                  // 00000000E994: D2890052 00010B03
	s_and_b32 s82, s82, 0xffffff                               // 00000000E99C: 8652FF52 00FFFFFF
	s_cmp_lt_u32 s82, s66                                      // 00000000E9A4: BF0A4252
	s_cselect_b32 s21, s36, s60                                // 00000000E9A8: 85153C24
	s_mov_b64 exec, s[20:21]                                   // 00000000E9AC: BEFE0114
	global_atomic_add_f32 v6, v78, s[8:9] offset:8             // 00000000E9B0: DD348008 00084E06
	global_atomic_add_f32 v6, v82, s[8:9] offset:264           // 00000000E9B8: DD348108 00085206
	global_atomic_add_f32 v6, v86, s[8:9] offset:520           // 00000000E9C0: DD348208 00085606
	global_atomic_add_f32 v6, v90, s[8:9] offset:776           // 00000000E9C8: DD348308 00085A06
	s_mov_b64 exec, s[36:37]                                   // 00000000E9D0: BEFE0124
	v_mov_b32_e32 v6, v49                                      // 00000000E9D4: 7E0C0331
	s_mov_b64 s[60:61], 0                                      // 00000000E9D8: BEBC0180
	v_readlane_b32 s82, v3, 6                                  // 00000000E9DC: D2890052 00010D03
	s_and_b32 s82, s82, 0xffffff                               // 00000000E9E4: 8652FF52 00FFFFFF
	s_cmp_lt_u32 s82, s66                                      // 00000000E9EC: BF0A4252
	s_cselect_b32 s20, s36, s60                                // 00000000E9F0: 85143C24
	v_readlane_b32 s82, v3, 7                                  // 00000000E9F4: D2890052 00010F03
	s_and_b32 s82, s82, 0xffffff                               // 00000000E9FC: 8652FF52 00FFFFFF
	s_cmp_lt_u32 s82, s66                                      // 00000000EA04: BF0A4252
	s_cselect_b32 s21, s36, s60                                // 00000000EA08: 85153C24
	s_mov_b64 exec, s[20:21]                                   // 00000000EA0C: BEFE0114
	global_atomic_add_f32 v6, v79, s[8:9] offset:8             // 00000000EA10: DD348008 00084F06
	global_atomic_add_f32 v6, v83, s[8:9] offset:264           // 00000000EA18: DD348108 00085306
	global_atomic_add_f32 v6, v87, s[8:9] offset:520           // 00000000EA20: DD348208 00085706
	global_atomic_add_f32 v6, v91, s[8:9] offset:776           // 00000000EA28: DD348308 00085B06
	s_mov_b64 exec, s[36:37]                                   // 00000000EA30: BEFE0124
	v_mov_b32_e32 v6, v50                                      // 00000000EA34: 7E0C0332
	s_mov_b64 s[60:61], 0                                      // 00000000EA38: BEBC0180
	v_readlane_b32 s82, v3, 8                                  // 00000000EA3C: D2890052 00011103
	s_and_b32 s82, s82, 0xffffff                               // 00000000EA44: 8652FF52 00FFFFFF
	s_cmp_lt_u32 s82, s66                                      // 00000000EA4C: BF0A4252
	s_cselect_b32 s20, s36, s60                                // 00000000EA50: 85143C24
	v_readlane_b32 s82, v3, 9                                  // 00000000EA54: D2890052 00011303
	s_and_b32 s82, s82, 0xffffff                               // 00000000EA5C: 8652FF52 00FFFFFF
	s_cmp_lt_u32 s82, s66                                      // 00000000EA64: BF0A4252
	s_cselect_b32 s21, s36, s60                                // 00000000EA68: 85153C24
	s_mov_b64 exec, s[20:21]                                   // 00000000EA6C: BEFE0114
	global_atomic_add_f32 v6, v94, s[8:9] offset:8             // 00000000EA70: DD348008 00085E06
	global_atomic_add_f32 v6, v98, s[8:9] offset:264           // 00000000EA78: DD348108 00086206
	global_atomic_add_f32 v6, v102, s[8:9] offset:520          // 00000000EA80: DD348208 00086606
	global_atomic_add_f32 v6, v106, s[8:9] offset:776          // 00000000EA88: DD348308 00086A06
	s_mov_b64 exec, s[36:37]                                   // 00000000EA90: BEFE0124
	v_mov_b32_e32 v6, v51                                      // 00000000EA94: 7E0C0333
	s_mov_b64 s[60:61], 0                                      // 00000000EA98: BEBC0180
	v_readlane_b32 s82, v3, 10                                 // 00000000EA9C: D2890052 00011503
	s_and_b32 s82, s82, 0xffffff                               // 00000000EAA4: 8652FF52 00FFFFFF
	s_cmp_lt_u32 s82, s66                                      // 00000000EAAC: BF0A4252
	s_cselect_b32 s20, s36, s60                                // 00000000EAB0: 85143C24
	v_readlane_b32 s82, v3, 11                                 // 00000000EAB4: D2890052 00011703
	s_and_b32 s82, s82, 0xffffff                               // 00000000EABC: 8652FF52 00FFFFFF
	s_cmp_lt_u32 s82, s66                                      // 00000000EAC4: BF0A4252
	s_cselect_b32 s21, s36, s60                                // 00000000EAC8: 85153C24
	s_mov_b64 exec, s[20:21]                                   // 00000000EACC: BEFE0114
	global_atomic_add_f32 v6, v95, s[8:9] offset:8             // 00000000EAD0: DD348008 00085F06
	global_atomic_add_f32 v6, v99, s[8:9] offset:264           // 00000000EAD8: DD348108 00086306
	global_atomic_add_f32 v6, v103, s[8:9] offset:520          // 00000000EAE0: DD348208 00086706
	global_atomic_add_f32 v6, v107, s[8:9] offset:776          // 00000000EAE8: DD348308 00086B06
	s_mov_b64 exec, s[36:37]                                   // 00000000EAF0: BEFE0124
	v_mov_b32_e32 v6, v52                                      // 00000000EAF4: 7E0C0334
	s_mov_b64 s[60:61], 0                                      // 00000000EAF8: BEBC0180
	v_readlane_b32 s82, v3, 12                                 // 00000000EAFC: D2890052 00011903
	s_and_b32 s82, s82, 0xffffff                               // 00000000EB04: 8652FF52 00FFFFFF
	s_cmp_lt_u32 s82, s66                                      // 00000000EB0C: BF0A4252
	s_cselect_b32 s20, s36, s60                                // 00000000EB10: 85143C24
	v_readlane_b32 s82, v3, 13                                 // 00000000EB14: D2890052 00011B03
	s_and_b32 s82, s82, 0xffffff                               // 00000000EB1C: 8652FF52 00FFFFFF
	s_cmp_lt_u32 s82, s66                                      // 00000000EB24: BF0A4252
	s_cselect_b32 s21, s36, s60                                // 00000000EB28: 85153C24
	s_mov_b64 exec, s[20:21]                                   // 00000000EB2C: BEFE0114
	global_atomic_add_f32 v6, v110, s[8:9] offset:8            // 00000000EB30: DD348008 00086E06
	global_atomic_add_f32 v6, v114, s[8:9] offset:264          // 00000000EB38: DD348108 00087206
	global_atomic_add_f32 v6, v118, s[8:9] offset:520          // 00000000EB40: DD348208 00087606
	global_atomic_add_f32 v6, v122, s[8:9] offset:776          // 00000000EB48: DD348308 00087A06
	s_mov_b64 exec, s[36:37]                                   // 00000000EB50: BEFE0124
	v_mov_b32_e32 v6, v53                                      // 00000000EB54: 7E0C0335
	s_mov_b64 s[60:61], 0                                      // 00000000EB58: BEBC0180
	v_readlane_b32 s82, v3, 14                                 // 00000000EB5C: D2890052 00011D03
	s_and_b32 s82, s82, 0xffffff                               // 00000000EB64: 8652FF52 00FFFFFF
	s_cmp_lt_u32 s82, s66                                      // 00000000EB6C: BF0A4252
	s_cselect_b32 s20, s36, s60                                // 00000000EB70: 85143C24
	v_readlane_b32 s82, v3, 15                                 // 00000000EB74: D2890052 00011F03
	s_and_b32 s82, s82, 0xffffff                               // 00000000EB7C: 8652FF52 00FFFFFF
	s_cmp_lt_u32 s82, s66                                      // 00000000EB84: BF0A4252
	s_cselect_b32 s21, s36, s60                                // 00000000EB88: 85153C24
	s_mov_b64 exec, s[20:21]                                   // 00000000EB8C: BEFE0114
	global_atomic_add_f32 v6, v111, s[8:9] offset:8            // 00000000EB90: DD348008 00086F06
	global_atomic_add_f32 v6, v115, s[8:9] offset:264          // 00000000EB98: DD348108 00087306
	global_atomic_add_f32 v6, v119, s[8:9] offset:520          // 00000000EBA0: DD348208 00087706
	global_atomic_add_f32 v6, v123, s[8:9] offset:776          // 00000000EBA8: DD348308 00087B06
	s_mov_b64 exec, s[36:37]                                   // 00000000EBB0: BEFE0124
	ds_write_b64 v20, v[124:125]                               // 00000000EBB4: D89A0000 00007C14
	ds_write_b64 v20, v[128:129] offset:8704                   // 00000000EBBC: D89A2200 00008014
	ds_write_b64 v20, v[132:133] offset:17408                  // 00000000EBC4: D89A4400 00008414
	ds_write_b64 v20, v[136:137] offset:26112                  // 00000000EBCC: D89A6600 00008814
	ds_write_b64 v20, v[140:141] offset:2176                   // 00000000EBD4: D89A0880 00008C14
	ds_write_b64 v20, v[144:145] offset:10880                  // 00000000EBDC: D89A2A80 00009014
	ds_write_b64 v20, v[148:149] offset:19584                  // 00000000EBE4: D89A4C80 00009414
	ds_write_b64 v20, v[152:153] offset:28288                  // 00000000EBEC: D89A6E80 00009814
	ds_write_b64 v20, v[156:157] offset:4352                   // 00000000EBF4: D89A1100 00009C14
	ds_write_b64 v20, v[160:161] offset:13056                  // 00000000EBFC: D89A3300 0000A014
	ds_write_b64 v20, v[164:165] offset:21760                  // 00000000EC04: D89A5500 0000A414
	ds_write_b64 v20, v[168:169] offset:30464                  // 00000000EC0C: D89A7700 0000A814
	ds_write_b64 v20, v[172:173] offset:6528                   // 00000000EC14: D89A1980 0000AC14
	ds_write_b64 v20, v[176:177] offset:15232                  // 00000000EC1C: D89A3B80 0000B014
	ds_write_b64 v20, v[180:181] offset:23936                  // 00000000EC24: D89A5D80 0000B414
	ds_write_b64 v20, v[184:185] offset:32640                  // 00000000EC2C: D89A7F80 0000B814
	s_waitcnt lgkmcnt(0)                                       // 00000000EC34: BF8CC07F
	s_barrier                                                  // 00000000EC38: BF8A0000
	ds_read_b32 v124, v21                                      // 00000000EC3C: D86C0000 7C000015
	ds_read_b32 v125, v21 offset:64                            // 00000000EC44: D86C0040 7D000015
	ds_read_b32 v128, v21 offset:2176                          // 00000000EC4C: D86C0880 80000015
	ds_read_b32 v129, v21 offset:2240                          // 00000000EC54: D86C08C0 81000015
	ds_read_b32 v132, v21 offset:4352                          // 00000000EC5C: D86C1100 84000015
	ds_read_b32 v133, v21 offset:4416                          // 00000000EC64: D86C1140 85000015
	ds_read_b32 v136, v21 offset:6528                          // 00000000EC6C: D86C1980 88000015
	ds_read_b32 v137, v21 offset:6592                          // 00000000EC74: D86C19C0 89000015
	ds_read_b32 v140, v21 offset:8704                          // 00000000EC7C: D86C2200 8C000015
	ds_read_b32 v141, v21 offset:8768                          // 00000000EC84: D86C2240 8D000015
	ds_read_b32 v144, v21 offset:10880                         // 00000000EC8C: D86C2A80 90000015
	ds_read_b32 v145, v21 offset:10944                         // 00000000EC94: D86C2AC0 91000015
	ds_read_b32 v148, v21 offset:13056                         // 00000000EC9C: D86C3300 94000015
	ds_read_b32 v149, v21 offset:13120                         // 00000000ECA4: D86C3340 95000015
	ds_read_b32 v152, v21 offset:15232                         // 00000000ECAC: D86C3B80 98000015
	ds_read_b32 v153, v21 offset:15296                         // 00000000ECB4: D86C3BC0 99000015
	ds_read_b32 v156, v21 offset:17408                         // 00000000ECBC: D86C4400 9C000015
	ds_read_b32 v157, v21 offset:17472                         // 00000000ECC4: D86C4440 9D000015
	ds_read_b32 v160, v21 offset:19584                         // 00000000ECCC: D86C4C80 A0000015
	ds_read_b32 v161, v21 offset:19648                         // 00000000ECD4: D86C4CC0 A1000015
	ds_read_b32 v164, v21 offset:21760                         // 00000000ECDC: D86C5500 A4000015
	ds_read_b32 v165, v21 offset:21824                         // 00000000ECE4: D86C5540 A5000015
	ds_read_b32 v168, v21 offset:23936                         // 00000000ECEC: D86C5D80 A8000015
	ds_read_b32 v169, v21 offset:24000                         // 00000000ECF4: D86C5DC0 A9000015
	ds_read_b32 v172, v21 offset:26112                         // 00000000ECFC: D86C6600 AC000015
	ds_read_b32 v173, v21 offset:26176                         // 00000000ED04: D86C6640 AD000015
	ds_read_b32 v176, v21 offset:28288                         // 00000000ED0C: D86C6E80 B0000015
	ds_read_b32 v177, v21 offset:28352                         // 00000000ED14: D86C6EC0 B1000015
	ds_read_b32 v180, v21 offset:30464                         // 00000000ED1C: D86C7700 B4000015
	ds_read_b32 v181, v21 offset:30528                         // 00000000ED24: D86C7740 B5000015
	ds_read_b32 v184, v21 offset:32640                         // 00000000ED2C: D86C7F80 B8000015
	ds_read_b32 v185, v21 offset:32704                         // 00000000ED34: D86C7FC0 B9000015
	s_mul_i32 s60, s65, 4                                      // 00000000ED3C: 923C8441
	s_add_u32 s8, s60, s8                                      // 00000000ED40: 8008083C
	s_addc_u32 s9, 0, s9                                       // 00000000ED44: 82090980
	s_waitcnt lgkmcnt(0)                                       // 00000000ED48: BF8CC07F
	v_mov_b32_e32 v7, 0                                        // 00000000ED4C: 7E0E0280
	s_mov_b64 exec, s[36:37]                                   // 00000000ED50: BEFE0124
	v_mov_b32_e32 v6, v46                                      // 00000000ED54: 7E0C032E
	s_mov_b64 s[60:61], 0                                      // 00000000ED58: BEBC0180
	v_readlane_b32 s82, v3, 0                                  // 00000000ED5C: D2890052 00010103
	s_and_b32 s82, s82, 0xffffff                               // 00000000ED64: 8652FF52 00FFFFFF
	s_cmp_lt_u32 s82, s66                                      // 00000000ED6C: BF0A4252
	s_cselect_b32 s20, s36, s60                                // 00000000ED70: 85143C24
	v_readlane_b32 s82, v3, 1                                  // 00000000ED74: D2890052 00010303
	s_and_b32 s82, s82, 0xffffff                               // 00000000ED7C: 8652FF52 00FFFFFF
	s_cmp_lt_u32 s82, s66                                      // 00000000ED84: BF0A4252
	s_cselect_b32 s21, s36, s60                                // 00000000ED88: 85153C24
	s_mov_b64 exec, s[20:21]                                   // 00000000ED8C: BEFE0114
	global_atomic_add_f32 v6, v124, s[8:9]                     // 00000000ED90: DD348000 00087C06
	global_atomic_add_f32 v6, v128, s[8:9] offset:256          // 00000000ED98: DD348100 00088006
	global_atomic_add_f32 v6, v132, s[8:9] offset:512          // 00000000EDA0: DD348200 00088406
	global_atomic_add_f32 v6, v136, s[8:9] offset:768          // 00000000EDA8: DD348300 00088806
	s_mov_b64 exec, s[36:37]                                   // 00000000EDB0: BEFE0124
	v_mov_b32_e32 v6, v47                                      // 00000000EDB4: 7E0C032F
	s_mov_b64 s[60:61], 0                                      // 00000000EDB8: BEBC0180
	v_readlane_b32 s82, v3, 2                                  // 00000000EDBC: D2890052 00010503
	s_and_b32 s82, s82, 0xffffff                               // 00000000EDC4: 8652FF52 00FFFFFF
	s_cmp_lt_u32 s82, s66                                      // 00000000EDCC: BF0A4252
	s_cselect_b32 s20, s36, s60                                // 00000000EDD0: 85143C24
	v_readlane_b32 s82, v3, 3                                  // 00000000EDD4: D2890052 00010703
	s_and_b32 s82, s82, 0xffffff                               // 00000000EDDC: 8652FF52 00FFFFFF
	s_cmp_lt_u32 s82, s66                                      // 00000000EDE4: BF0A4252
	s_cselect_b32 s21, s36, s60                                // 00000000EDE8: 85153C24
	s_mov_b64 exec, s[20:21]                                   // 00000000EDEC: BEFE0114
	global_atomic_add_f32 v6, v125, s[8:9]                     // 00000000EDF0: DD348000 00087D06
	global_atomic_add_f32 v6, v129, s[8:9] offset:256          // 00000000EDF8: DD348100 00088106
	global_atomic_add_f32 v6, v133, s[8:9] offset:512          // 00000000EE00: DD348200 00088506
	global_atomic_add_f32 v6, v137, s[8:9] offset:768          // 00000000EE08: DD348300 00088906
	s_mov_b64 exec, s[36:37]                                   // 00000000EE10: BEFE0124
	v_mov_b32_e32 v6, v48                                      // 00000000EE14: 7E0C0330
	s_mov_b64 s[60:61], 0                                      // 00000000EE18: BEBC0180
	v_readlane_b32 s82, v3, 4                                  // 00000000EE1C: D2890052 00010903
	s_and_b32 s82, s82, 0xffffff                               // 00000000EE24: 8652FF52 00FFFFFF
	s_cmp_lt_u32 s82, s66                                      // 00000000EE2C: BF0A4252
	s_cselect_b32 s20, s36, s60                                // 00000000EE30: 85143C24
	v_readlane_b32 s82, v3, 5                                  // 00000000EE34: D2890052 00010B03
	s_and_b32 s82, s82, 0xffffff                               // 00000000EE3C: 8652FF52 00FFFFFF
	s_cmp_lt_u32 s82, s66                                      // 00000000EE44: BF0A4252
	s_cselect_b32 s21, s36, s60                                // 00000000EE48: 85153C24
	s_mov_b64 exec, s[20:21]                                   // 00000000EE4C: BEFE0114
	global_atomic_add_f32 v6, v140, s[8:9]                     // 00000000EE50: DD348000 00088C06
	global_atomic_add_f32 v6, v144, s[8:9] offset:256          // 00000000EE58: DD348100 00089006
	global_atomic_add_f32 v6, v148, s[8:9] offset:512          // 00000000EE60: DD348200 00089406
	global_atomic_add_f32 v6, v152, s[8:9] offset:768          // 00000000EE68: DD348300 00089806
	s_mov_b64 exec, s[36:37]                                   // 00000000EE70: BEFE0124
	v_mov_b32_e32 v6, v49                                      // 00000000EE74: 7E0C0331
	s_mov_b64 s[60:61], 0                                      // 00000000EE78: BEBC0180
	v_readlane_b32 s82, v3, 6                                  // 00000000EE7C: D2890052 00010D03
	s_and_b32 s82, s82, 0xffffff                               // 00000000EE84: 8652FF52 00FFFFFF
	s_cmp_lt_u32 s82, s66                                      // 00000000EE8C: BF0A4252
	s_cselect_b32 s20, s36, s60                                // 00000000EE90: 85143C24
	v_readlane_b32 s82, v3, 7                                  // 00000000EE94: D2890052 00010F03
	s_and_b32 s82, s82, 0xffffff                               // 00000000EE9C: 8652FF52 00FFFFFF
	s_cmp_lt_u32 s82, s66                                      // 00000000EEA4: BF0A4252
	s_cselect_b32 s21, s36, s60                                // 00000000EEA8: 85153C24
	s_mov_b64 exec, s[20:21]                                   // 00000000EEAC: BEFE0114
	global_atomic_add_f32 v6, v141, s[8:9]                     // 00000000EEB0: DD348000 00088D06
	global_atomic_add_f32 v6, v145, s[8:9] offset:256          // 00000000EEB8: DD348100 00089106
	global_atomic_add_f32 v6, v149, s[8:9] offset:512          // 00000000EEC0: DD348200 00089506
	global_atomic_add_f32 v6, v153, s[8:9] offset:768          // 00000000EEC8: DD348300 00089906
	s_mov_b64 exec, s[36:37]                                   // 00000000EED0: BEFE0124
	v_mov_b32_e32 v6, v50                                      // 00000000EED4: 7E0C0332
	s_mov_b64 s[60:61], 0                                      // 00000000EED8: BEBC0180
	v_readlane_b32 s82, v3, 8                                  // 00000000EEDC: D2890052 00011103
	s_and_b32 s82, s82, 0xffffff                               // 00000000EEE4: 8652FF52 00FFFFFF
	s_cmp_lt_u32 s82, s66                                      // 00000000EEEC: BF0A4252
	s_cselect_b32 s20, s36, s60                                // 00000000EEF0: 85143C24
	v_readlane_b32 s82, v3, 9                                  // 00000000EEF4: D2890052 00011303
	s_and_b32 s82, s82, 0xffffff                               // 00000000EEFC: 8652FF52 00FFFFFF
	s_cmp_lt_u32 s82, s66                                      // 00000000EF04: BF0A4252
	s_cselect_b32 s21, s36, s60                                // 00000000EF08: 85153C24
	s_mov_b64 exec, s[20:21]                                   // 00000000EF0C: BEFE0114
	global_atomic_add_f32 v6, v156, s[8:9]                     // 00000000EF10: DD348000 00089C06
	global_atomic_add_f32 v6, v160, s[8:9] offset:256          // 00000000EF18: DD348100 0008A006
	global_atomic_add_f32 v6, v164, s[8:9] offset:512          // 00000000EF20: DD348200 0008A406
	global_atomic_add_f32 v6, v168, s[8:9] offset:768          // 00000000EF28: DD348300 0008A806
	s_mov_b64 exec, s[36:37]                                   // 00000000EF30: BEFE0124
	v_mov_b32_e32 v6, v51                                      // 00000000EF34: 7E0C0333
	s_mov_b64 s[60:61], 0                                      // 00000000EF38: BEBC0180
	v_readlane_b32 s82, v3, 10                                 // 00000000EF3C: D2890052 00011503
	s_and_b32 s82, s82, 0xffffff                               // 00000000EF44: 8652FF52 00FFFFFF
	s_cmp_lt_u32 s82, s66                                      // 00000000EF4C: BF0A4252
	s_cselect_b32 s20, s36, s60                                // 00000000EF50: 85143C24
	v_readlane_b32 s82, v3, 11                                 // 00000000EF54: D2890052 00011703
	s_and_b32 s82, s82, 0xffffff                               // 00000000EF5C: 8652FF52 00FFFFFF
	s_cmp_lt_u32 s82, s66                                      // 00000000EF64: BF0A4252
	s_cselect_b32 s21, s36, s60                                // 00000000EF68: 85153C24
	s_mov_b64 exec, s[20:21]                                   // 00000000EF6C: BEFE0114
	global_atomic_add_f32 v6, v157, s[8:9]                     // 00000000EF70: DD348000 00089D06
	global_atomic_add_f32 v6, v161, s[8:9] offset:256          // 00000000EF78: DD348100 0008A106
	global_atomic_add_f32 v6, v165, s[8:9] offset:512          // 00000000EF80: DD348200 0008A506
	global_atomic_add_f32 v6, v169, s[8:9] offset:768          // 00000000EF88: DD348300 0008A906
	s_mov_b64 exec, s[36:37]                                   // 00000000EF90: BEFE0124
	v_mov_b32_e32 v6, v52                                      // 00000000EF94: 7E0C0334
	s_mov_b64 s[60:61], 0                                      // 00000000EF98: BEBC0180
	v_readlane_b32 s82, v3, 12                                 // 00000000EF9C: D2890052 00011903
	s_and_b32 s82, s82, 0xffffff                               // 00000000EFA4: 8652FF52 00FFFFFF
	s_cmp_lt_u32 s82, s66                                      // 00000000EFAC: BF0A4252
	s_cselect_b32 s20, s36, s60                                // 00000000EFB0: 85143C24
	v_readlane_b32 s82, v3, 13                                 // 00000000EFB4: D2890052 00011B03
	s_and_b32 s82, s82, 0xffffff                               // 00000000EFBC: 8652FF52 00FFFFFF
	s_cmp_lt_u32 s82, s66                                      // 00000000EFC4: BF0A4252
	s_cselect_b32 s21, s36, s60                                // 00000000EFC8: 85153C24
	s_mov_b64 exec, s[20:21]                                   // 00000000EFCC: BEFE0114
	global_atomic_add_f32 v6, v172, s[8:9]                     // 00000000EFD0: DD348000 0008AC06
	global_atomic_add_f32 v6, v176, s[8:9] offset:256          // 00000000EFD8: DD348100 0008B006
	global_atomic_add_f32 v6, v180, s[8:9] offset:512          // 00000000EFE0: DD348200 0008B406
	global_atomic_add_f32 v6, v184, s[8:9] offset:768          // 00000000EFE8: DD348300 0008B806
	s_mov_b64 exec, s[36:37]                                   // 00000000EFF0: BEFE0124
	v_mov_b32_e32 v6, v53                                      // 00000000EFF4: 7E0C0335
	s_mov_b64 s[60:61], 0                                      // 00000000EFF8: BEBC0180
	v_readlane_b32 s82, v3, 14                                 // 00000000EFFC: D2890052 00011D03
	s_and_b32 s82, s82, 0xffffff                               // 00000000F004: 8652FF52 00FFFFFF
	s_cmp_lt_u32 s82, s66                                      // 00000000F00C: BF0A4252
	s_cselect_b32 s20, s36, s60                                // 00000000F010: 85143C24
	v_readlane_b32 s82, v3, 15                                 // 00000000F014: D2890052 00011F03
	s_and_b32 s82, s82, 0xffffff                               // 00000000F01C: 8652FF52 00FFFFFF
	s_cmp_lt_u32 s82, s66                                      // 00000000F024: BF0A4252
	s_cselect_b32 s21, s36, s60                                // 00000000F028: 85153C24
	s_mov_b64 exec, s[20:21]                                   // 00000000F02C: BEFE0114
	global_atomic_add_f32 v6, v173, s[8:9]                     // 00000000F030: DD348000 0008AD06
	global_atomic_add_f32 v6, v177, s[8:9] offset:256          // 00000000F038: DD348100 0008B106
	global_atomic_add_f32 v6, v181, s[8:9] offset:512          // 00000000F040: DD348200 0008B506
	global_atomic_add_f32 v6, v185, s[8:9] offset:768          // 00000000F048: DD348300 0008B906
	s_mov_b64 exec, s[36:37]                                   // 00000000F050: BEFE0124
	ds_write_b64 v20, v[126:127]                               // 00000000F054: D89A0000 00007E14
	ds_write_b64 v20, v[130:131] offset:8704                   // 00000000F05C: D89A2200 00008214
	ds_write_b64 v20, v[134:135] offset:17408                  // 00000000F064: D89A4400 00008614
	ds_write_b64 v20, v[138:139] offset:26112                  // 00000000F06C: D89A6600 00008A14
	ds_write_b64 v20, v[142:143] offset:2176                   // 00000000F074: D89A0880 00008E14
	ds_write_b64 v20, v[146:147] offset:10880                  // 00000000F07C: D89A2A80 00009214
	ds_write_b64 v20, v[150:151] offset:19584                  // 00000000F084: D89A4C80 00009614
	ds_write_b64 v20, v[154:155] offset:28288                  // 00000000F08C: D89A6E80 00009A14
	ds_write_b64 v20, v[158:159] offset:4352                   // 00000000F094: D89A1100 00009E14
	ds_write_b64 v20, v[162:163] offset:13056                  // 00000000F09C: D89A3300 0000A214
	ds_write_b64 v20, v[166:167] offset:21760                  // 00000000F0A4: D89A5500 0000A614
	ds_write_b64 v20, v[170:171] offset:30464                  // 00000000F0AC: D89A7700 0000AA14
	ds_write_b64 v20, v[174:175] offset:6528                   // 00000000F0B4: D89A1980 0000AE14
	ds_write_b64 v20, v[178:179] offset:15232                  // 00000000F0BC: D89A3B80 0000B214
	ds_write_b64 v20, v[182:183] offset:23936                  // 00000000F0C4: D89A5D80 0000B614
	ds_write_b64 v20, v[186:187] offset:32640                  // 00000000F0CC: D89A7F80 0000BA14
	s_waitcnt lgkmcnt(0)                                       // 00000000F0D4: BF8CC07F
	s_barrier                                                  // 00000000F0D8: BF8A0000
	ds_read_b32 v126, v21                                      // 00000000F0DC: D86C0000 7E000015
	ds_read_b32 v127, v21 offset:64                            // 00000000F0E4: D86C0040 7F000015
	ds_read_b32 v130, v21 offset:2176                          // 00000000F0EC: D86C0880 82000015
	ds_read_b32 v131, v21 offset:2240                          // 00000000F0F4: D86C08C0 83000015
	ds_read_b32 v134, v21 offset:4352                          // 00000000F0FC: D86C1100 86000015
	ds_read_b32 v135, v21 offset:4416                          // 00000000F104: D86C1140 87000015
	ds_read_b32 v138, v21 offset:6528                          // 00000000F10C: D86C1980 8A000015
	ds_read_b32 v139, v21 offset:6592                          // 00000000F114: D86C19C0 8B000015
	ds_read_b32 v142, v21 offset:8704                          // 00000000F11C: D86C2200 8E000015
	ds_read_b32 v143, v21 offset:8768                          // 00000000F124: D86C2240 8F000015
	ds_read_b32 v146, v21 offset:10880                         // 00000000F12C: D86C2A80 92000015
	ds_read_b32 v147, v21 offset:10944                         // 00000000F134: D86C2AC0 93000015
	ds_read_b32 v150, v21 offset:13056                         // 00000000F13C: D86C3300 96000015
	ds_read_b32 v151, v21 offset:13120                         // 00000000F144: D86C3340 97000015
	ds_read_b32 v154, v21 offset:15232                         // 00000000F14C: D86C3B80 9A000015
	ds_read_b32 v155, v21 offset:15296                         // 00000000F154: D86C3BC0 9B000015
	ds_read_b32 v158, v21 offset:17408                         // 00000000F15C: D86C4400 9E000015
	ds_read_b32 v159, v21 offset:17472                         // 00000000F164: D86C4440 9F000015
	ds_read_b32 v162, v21 offset:19584                         // 00000000F16C: D86C4C80 A2000015
	ds_read_b32 v163, v21 offset:19648                         // 00000000F174: D86C4CC0 A3000015
	ds_read_b32 v166, v21 offset:21760                         // 00000000F17C: D86C5500 A6000015
	ds_read_b32 v167, v21 offset:21824                         // 00000000F184: D86C5540 A7000015
	ds_read_b32 v170, v21 offset:23936                         // 00000000F18C: D86C5D80 AA000015
	ds_read_b32 v171, v21 offset:24000                         // 00000000F194: D86C5DC0 AB000015
	ds_read_b32 v174, v21 offset:26112                         // 00000000F19C: D86C6600 AE000015
	ds_read_b32 v175, v21 offset:26176                         // 00000000F1A4: D86C6640 AF000015
	ds_read_b32 v178, v21 offset:28288                         // 00000000F1AC: D86C6E80 B2000015
	ds_read_b32 v179, v21 offset:28352                         // 00000000F1B4: D86C6EC0 B3000015
	ds_read_b32 v182, v21 offset:30464                         // 00000000F1BC: D86C7700 B6000015
	ds_read_b32 v183, v21 offset:30528                         // 00000000F1C4: D86C7740 B7000015
	ds_read_b32 v186, v21 offset:32640                         // 00000000F1CC: D86C7F80 BA000015
	ds_read_b32 v187, v21 offset:32704                         // 00000000F1D4: D86C7FC0 BB000015
	s_waitcnt lgkmcnt(0)                                       // 00000000F1DC: BF8CC07F
	v_mov_b32_e32 v7, 0                                        // 00000000F1E0: 7E0E0280
	s_mov_b64 exec, s[36:37]                                   // 00000000F1E4: BEFE0124
	v_mov_b32_e32 v6, v46                                      // 00000000F1E8: 7E0C032E
	s_mov_b64 s[60:61], 0                                      // 00000000F1EC: BEBC0180
	v_readlane_b32 s82, v3, 0                                  // 00000000F1F0: D2890052 00010103
	s_and_b32 s82, s82, 0xffffff                               // 00000000F1F8: 8652FF52 00FFFFFF
	s_cmp_lt_u32 s82, s66                                      // 00000000F200: BF0A4252
	s_cselect_b32 s20, s36, s60                                // 00000000F204: 85143C24
	v_readlane_b32 s82, v3, 1                                  // 00000000F208: D2890052 00010303
	s_and_b32 s82, s82, 0xffffff                               // 00000000F210: 8652FF52 00FFFFFF
	s_cmp_lt_u32 s82, s66                                      // 00000000F218: BF0A4252
	s_cselect_b32 s21, s36, s60                                // 00000000F21C: 85153C24
	s_mov_b64 exec, s[20:21]                                   // 00000000F220: BEFE0114
	global_atomic_add_f32 v6, v126, s[8:9] offset:8            // 00000000F224: DD348008 00087E06
	global_atomic_add_f32 v6, v130, s[8:9] offset:264          // 00000000F22C: DD348108 00088206
	global_atomic_add_f32 v6, v134, s[8:9] offset:520          // 00000000F234: DD348208 00088606
	global_atomic_add_f32 v6, v138, s[8:9] offset:776          // 00000000F23C: DD348308 00088A06
	s_mov_b64 exec, s[36:37]                                   // 00000000F244: BEFE0124
	v_mov_b32_e32 v6, v47                                      // 00000000F248: 7E0C032F
	s_mov_b64 s[60:61], 0                                      // 00000000F24C: BEBC0180
	v_readlane_b32 s82, v3, 2                                  // 00000000F250: D2890052 00010503
	s_and_b32 s82, s82, 0xffffff                               // 00000000F258: 8652FF52 00FFFFFF
	s_cmp_lt_u32 s82, s66                                      // 00000000F260: BF0A4252
	s_cselect_b32 s20, s36, s60                                // 00000000F264: 85143C24
	v_readlane_b32 s82, v3, 3                                  // 00000000F268: D2890052 00010703
	s_and_b32 s82, s82, 0xffffff                               // 00000000F270: 8652FF52 00FFFFFF
	s_cmp_lt_u32 s82, s66                                      // 00000000F278: BF0A4252
	s_cselect_b32 s21, s36, s60                                // 00000000F27C: 85153C24
	s_mov_b64 exec, s[20:21]                                   // 00000000F280: BEFE0114
	global_atomic_add_f32 v6, v127, s[8:9] offset:8            // 00000000F284: DD348008 00087F06
	global_atomic_add_f32 v6, v131, s[8:9] offset:264          // 00000000F28C: DD348108 00088306
	global_atomic_add_f32 v6, v135, s[8:9] offset:520          // 00000000F294: DD348208 00088706
	global_atomic_add_f32 v6, v139, s[8:9] offset:776          // 00000000F29C: DD348308 00088B06
	s_mov_b64 exec, s[36:37]                                   // 00000000F2A4: BEFE0124
	v_mov_b32_e32 v6, v48                                      // 00000000F2A8: 7E0C0330
	s_mov_b64 s[60:61], 0                                      // 00000000F2AC: BEBC0180
	v_readlane_b32 s82, v3, 4                                  // 00000000F2B0: D2890052 00010903
	s_and_b32 s82, s82, 0xffffff                               // 00000000F2B8: 8652FF52 00FFFFFF
	s_cmp_lt_u32 s82, s66                                      // 00000000F2C0: BF0A4252
	s_cselect_b32 s20, s36, s60                                // 00000000F2C4: 85143C24
	v_readlane_b32 s82, v3, 5                                  // 00000000F2C8: D2890052 00010B03
	s_and_b32 s82, s82, 0xffffff                               // 00000000F2D0: 8652FF52 00FFFFFF
	s_cmp_lt_u32 s82, s66                                      // 00000000F2D8: BF0A4252
	s_cselect_b32 s21, s36, s60                                // 00000000F2DC: 85153C24
	s_mov_b64 exec, s[20:21]                                   // 00000000F2E0: BEFE0114
	global_atomic_add_f32 v6, v142, s[8:9] offset:8            // 00000000F2E4: DD348008 00088E06
	global_atomic_add_f32 v6, v146, s[8:9] offset:264          // 00000000F2EC: DD348108 00089206
	global_atomic_add_f32 v6, v150, s[8:9] offset:520          // 00000000F2F4: DD348208 00089606
	global_atomic_add_f32 v6, v154, s[8:9] offset:776          // 00000000F2FC: DD348308 00089A06
	s_mov_b64 exec, s[36:37]                                   // 00000000F304: BEFE0124
	v_mov_b32_e32 v6, v49                                      // 00000000F308: 7E0C0331
	s_mov_b64 s[60:61], 0                                      // 00000000F30C: BEBC0180
	v_readlane_b32 s82, v3, 6                                  // 00000000F310: D2890052 00010D03
	s_and_b32 s82, s82, 0xffffff                               // 00000000F318: 8652FF52 00FFFFFF
	s_cmp_lt_u32 s82, s66                                      // 00000000F320: BF0A4252
	s_cselect_b32 s20, s36, s60                                // 00000000F324: 85143C24
	v_readlane_b32 s82, v3, 7                                  // 00000000F328: D2890052 00010F03
	s_and_b32 s82, s82, 0xffffff                               // 00000000F330: 8652FF52 00FFFFFF
	s_cmp_lt_u32 s82, s66                                      // 00000000F338: BF0A4252
	s_cselect_b32 s21, s36, s60                                // 00000000F33C: 85153C24
	s_mov_b64 exec, s[20:21]                                   // 00000000F340: BEFE0114
	global_atomic_add_f32 v6, v143, s[8:9] offset:8            // 00000000F344: DD348008 00088F06
	global_atomic_add_f32 v6, v147, s[8:9] offset:264          // 00000000F34C: DD348108 00089306
	global_atomic_add_f32 v6, v151, s[8:9] offset:520          // 00000000F354: DD348208 00089706
	global_atomic_add_f32 v6, v155, s[8:9] offset:776          // 00000000F35C: DD348308 00089B06
	s_mov_b64 exec, s[36:37]                                   // 00000000F364: BEFE0124
	v_mov_b32_e32 v6, v50                                      // 00000000F368: 7E0C0332
	s_mov_b64 s[60:61], 0                                      // 00000000F36C: BEBC0180
	v_readlane_b32 s82, v3, 8                                  // 00000000F370: D2890052 00011103
	s_and_b32 s82, s82, 0xffffff                               // 00000000F378: 8652FF52 00FFFFFF
	s_cmp_lt_u32 s82, s66                                      // 00000000F380: BF0A4252
	s_cselect_b32 s20, s36, s60                                // 00000000F384: 85143C24
	v_readlane_b32 s82, v3, 9                                  // 00000000F388: D2890052 00011303
	s_and_b32 s82, s82, 0xffffff                               // 00000000F390: 8652FF52 00FFFFFF
	s_cmp_lt_u32 s82, s66                                      // 00000000F398: BF0A4252
	s_cselect_b32 s21, s36, s60                                // 00000000F39C: 85153C24
	s_mov_b64 exec, s[20:21]                                   // 00000000F3A0: BEFE0114
	global_atomic_add_f32 v6, v158, s[8:9] offset:8            // 00000000F3A4: DD348008 00089E06
	global_atomic_add_f32 v6, v162, s[8:9] offset:264          // 00000000F3AC: DD348108 0008A206
	global_atomic_add_f32 v6, v166, s[8:9] offset:520          // 00000000F3B4: DD348208 0008A606
	global_atomic_add_f32 v6, v170, s[8:9] offset:776          // 00000000F3BC: DD348308 0008AA06
	s_mov_b64 exec, s[36:37]                                   // 00000000F3C4: BEFE0124
	v_mov_b32_e32 v6, v51                                      // 00000000F3C8: 7E0C0333
	s_mov_b64 s[60:61], 0                                      // 00000000F3CC: BEBC0180
	v_readlane_b32 s82, v3, 10                                 // 00000000F3D0: D2890052 00011503
	s_and_b32 s82, s82, 0xffffff                               // 00000000F3D8: 8652FF52 00FFFFFF
	s_cmp_lt_u32 s82, s66                                      // 00000000F3E0: BF0A4252
	s_cselect_b32 s20, s36, s60                                // 00000000F3E4: 85143C24
	v_readlane_b32 s82, v3, 11                                 // 00000000F3E8: D2890052 00011703
	s_and_b32 s82, s82, 0xffffff                               // 00000000F3F0: 8652FF52 00FFFFFF
	s_cmp_lt_u32 s82, s66                                      // 00000000F3F8: BF0A4252
	s_cselect_b32 s21, s36, s60                                // 00000000F3FC: 85153C24
	s_mov_b64 exec, s[20:21]                                   // 00000000F400: BEFE0114
	global_atomic_add_f32 v6, v159, s[8:9] offset:8            // 00000000F404: DD348008 00089F06
	global_atomic_add_f32 v6, v163, s[8:9] offset:264          // 00000000F40C: DD348108 0008A306
	global_atomic_add_f32 v6, v167, s[8:9] offset:520          // 00000000F414: DD348208 0008A706
	global_atomic_add_f32 v6, v171, s[8:9] offset:776          // 00000000F41C: DD348308 0008AB06
	s_mov_b64 exec, s[36:37]                                   // 00000000F424: BEFE0124
	v_mov_b32_e32 v6, v52                                      // 00000000F428: 7E0C0334
	s_mov_b64 s[60:61], 0                                      // 00000000F42C: BEBC0180
	v_readlane_b32 s82, v3, 12                                 // 00000000F430: D2890052 00011903
	s_and_b32 s82, s82, 0xffffff                               // 00000000F438: 8652FF52 00FFFFFF
	s_cmp_lt_u32 s82, s66                                      // 00000000F440: BF0A4252
	s_cselect_b32 s20, s36, s60                                // 00000000F444: 85143C24
	v_readlane_b32 s82, v3, 13                                 // 00000000F448: D2890052 00011B03
	s_and_b32 s82, s82, 0xffffff                               // 00000000F450: 8652FF52 00FFFFFF
	s_cmp_lt_u32 s82, s66                                      // 00000000F458: BF0A4252
	s_cselect_b32 s21, s36, s60                                // 00000000F45C: 85153C24
	s_mov_b64 exec, s[20:21]                                   // 00000000F460: BEFE0114
	global_atomic_add_f32 v6, v174, s[8:9] offset:8            // 00000000F464: DD348008 0008AE06
	global_atomic_add_f32 v6, v178, s[8:9] offset:264          // 00000000F46C: DD348108 0008B206
	global_atomic_add_f32 v6, v182, s[8:9] offset:520          // 00000000F474: DD348208 0008B606
	global_atomic_add_f32 v6, v186, s[8:9] offset:776          // 00000000F47C: DD348308 0008BA06
	s_mov_b64 exec, s[36:37]                                   // 00000000F484: BEFE0124
	v_mov_b32_e32 v6, v53                                      // 00000000F488: 7E0C0335
	s_mov_b64 s[60:61], 0                                      // 00000000F48C: BEBC0180
	v_readlane_b32 s82, v3, 14                                 // 00000000F490: D2890052 00011D03
	s_and_b32 s82, s82, 0xffffff                               // 00000000F498: 8652FF52 00FFFFFF
	s_cmp_lt_u32 s82, s66                                      // 00000000F4A0: BF0A4252
	s_cselect_b32 s20, s36, s60                                // 00000000F4A4: 85143C24
	v_readlane_b32 s82, v3, 15                                 // 00000000F4A8: D2890052 00011F03
	s_and_b32 s82, s82, 0xffffff                               // 00000000F4B0: 8652FF52 00FFFFFF
	s_cmp_lt_u32 s82, s66                                      // 00000000F4B8: BF0A4252
	s_cselect_b32 s21, s36, s60                                // 00000000F4BC: 85153C24
	s_mov_b64 exec, s[20:21]                                   // 00000000F4C0: BEFE0114
	global_atomic_add_f32 v6, v175, s[8:9] offset:8            // 00000000F4C4: DD348008 0008AF06
	global_atomic_add_f32 v6, v179, s[8:9] offset:264          // 00000000F4CC: DD348108 0008B306
	global_atomic_add_f32 v6, v183, s[8:9] offset:520          // 00000000F4D4: DD348208 0008B706
	global_atomic_add_f32 v6, v187, s[8:9] offset:776          // 00000000F4DC: DD348308 0008BB06
	s_mov_b64 exec, s[36:37]                                   // 00000000F4E4: BEFE0124
	s_branch label_32BE                                        // 00000000F4E8: BF820000

000000000000f4ec <label_32BE>:
	s_waitcnt vmcnt(0) expcnt(0) lgkmcnt(0)                    // 00000000F4EC: BF8C0000
	s_endpgm                                                   // 00000000F4F0: BF810000
